;; amdgpu-corpus repo=ROCm/rocFFT kind=compiled arch=gfx906 opt=O3
	.text
	.amdgcn_target "amdgcn-amd-amdhsa--gfx906"
	.amdhsa_code_object_version 6
	.protected	fft_rtc_fwd_len3840_factors_10_6_2_2_2_2_2_2_wgs_128_tpt_128_halfLds_half_ip_CI_unitstride_sbrr_dirReg ; -- Begin function fft_rtc_fwd_len3840_factors_10_6_2_2_2_2_2_2_wgs_128_tpt_128_halfLds_half_ip_CI_unitstride_sbrr_dirReg
	.globl	fft_rtc_fwd_len3840_factors_10_6_2_2_2_2_2_2_wgs_128_tpt_128_halfLds_half_ip_CI_unitstride_sbrr_dirReg
	.p2align	8
	.type	fft_rtc_fwd_len3840_factors_10_6_2_2_2_2_2_2_wgs_128_tpt_128_halfLds_half_ip_CI_unitstride_sbrr_dirReg,@function
fft_rtc_fwd_len3840_factors_10_6_2_2_2_2_2_2_wgs_128_tpt_128_halfLds_half_ip_CI_unitstride_sbrr_dirReg: ; @fft_rtc_fwd_len3840_factors_10_6_2_2_2_2_2_2_wgs_128_tpt_128_halfLds_half_ip_CI_unitstride_sbrr_dirReg
; %bb.0:
	s_load_dwordx4 s[8:11], s[4:5], 0x0
	s_load_dwordx2 s[2:3], s[4:5], 0x50
	s_load_dwordx2 s[12:13], s[4:5], 0x18
	v_mov_b32_e32 v3, 0
	v_mov_b32_e32 v1, 0
	s_waitcnt lgkmcnt(0)
	v_cmp_lt_u64_e64 s[0:1], s[10:11], 2
	v_mov_b32_e32 v5, s6
	v_mov_b32_e32 v6, v3
	s_and_b64 vcc, exec, s[0:1]
	v_mov_b32_e32 v2, 0
	s_cbranch_vccnz .LBB0_8
; %bb.1:
	s_load_dwordx2 s[0:1], s[4:5], 0x10
	s_add_u32 s6, s12, 8
	s_addc_u32 s7, s13, 0
	v_mov_b32_e32 v1, 0
	v_mov_b32_e32 v2, 0
	s_waitcnt lgkmcnt(0)
	s_add_u32 s14, s0, 8
	s_addc_u32 s15, s1, 0
	s_mov_b64 s[16:17], 1
.LBB0_2:                                ; =>This Inner Loop Header: Depth=1
	s_load_dwordx2 s[18:19], s[14:15], 0x0
                                        ; implicit-def: $vgpr7_vgpr8
	s_waitcnt lgkmcnt(0)
	v_or_b32_e32 v4, s19, v6
	v_cmp_ne_u64_e32 vcc, 0, v[3:4]
	s_and_saveexec_b64 s[0:1], vcc
	s_xor_b64 s[20:21], exec, s[0:1]
	s_cbranch_execz .LBB0_4
; %bb.3:                                ;   in Loop: Header=BB0_2 Depth=1
	v_cvt_f32_u32_e32 v4, s18
	v_cvt_f32_u32_e32 v7, s19
	s_sub_u32 s0, 0, s18
	s_subb_u32 s1, 0, s19
	v_mac_f32_e32 v4, 0x4f800000, v7
	v_rcp_f32_e32 v4, v4
	v_mul_f32_e32 v4, 0x5f7ffffc, v4
	v_mul_f32_e32 v7, 0x2f800000, v4
	v_trunc_f32_e32 v7, v7
	v_mac_f32_e32 v4, 0xcf800000, v7
	v_cvt_u32_f32_e32 v7, v7
	v_cvt_u32_f32_e32 v4, v4
	v_mul_lo_u32 v8, s0, v7
	v_mul_hi_u32 v9, s0, v4
	v_mul_lo_u32 v11, s1, v4
	v_mul_lo_u32 v10, s0, v4
	v_add_u32_e32 v8, v9, v8
	v_add_u32_e32 v8, v8, v11
	v_mul_hi_u32 v9, v4, v10
	v_mul_lo_u32 v11, v4, v8
	v_mul_hi_u32 v13, v4, v8
	v_mul_hi_u32 v12, v7, v10
	v_mul_lo_u32 v10, v7, v10
	v_mul_hi_u32 v14, v7, v8
	v_add_co_u32_e32 v9, vcc, v9, v11
	v_addc_co_u32_e32 v11, vcc, 0, v13, vcc
	v_mul_lo_u32 v8, v7, v8
	v_add_co_u32_e32 v9, vcc, v9, v10
	v_addc_co_u32_e32 v9, vcc, v11, v12, vcc
	v_addc_co_u32_e32 v10, vcc, 0, v14, vcc
	v_add_co_u32_e32 v8, vcc, v9, v8
	v_addc_co_u32_e32 v9, vcc, 0, v10, vcc
	v_add_co_u32_e32 v4, vcc, v4, v8
	v_addc_co_u32_e32 v7, vcc, v7, v9, vcc
	v_mul_lo_u32 v8, s0, v7
	v_mul_hi_u32 v9, s0, v4
	v_mul_lo_u32 v10, s1, v4
	v_mul_lo_u32 v11, s0, v4
	v_add_u32_e32 v8, v9, v8
	v_add_u32_e32 v8, v8, v10
	v_mul_lo_u32 v12, v4, v8
	v_mul_hi_u32 v13, v4, v11
	v_mul_hi_u32 v14, v4, v8
	;; [unrolled: 1-line block ×3, first 2 shown]
	v_mul_lo_u32 v11, v7, v11
	v_mul_hi_u32 v9, v7, v8
	v_add_co_u32_e32 v12, vcc, v13, v12
	v_addc_co_u32_e32 v13, vcc, 0, v14, vcc
	v_mul_lo_u32 v8, v7, v8
	v_add_co_u32_e32 v11, vcc, v12, v11
	v_addc_co_u32_e32 v10, vcc, v13, v10, vcc
	v_addc_co_u32_e32 v9, vcc, 0, v9, vcc
	v_add_co_u32_e32 v8, vcc, v10, v8
	v_addc_co_u32_e32 v9, vcc, 0, v9, vcc
	v_add_co_u32_e32 v4, vcc, v4, v8
	v_addc_co_u32_e32 v9, vcc, v7, v9, vcc
	v_mad_u64_u32 v[7:8], s[0:1], v5, v9, 0
	v_mul_hi_u32 v10, v5, v4
	v_add_co_u32_e32 v11, vcc, v10, v7
	v_addc_co_u32_e32 v12, vcc, 0, v8, vcc
	v_mad_u64_u32 v[7:8], s[0:1], v6, v4, 0
	v_mad_u64_u32 v[9:10], s[0:1], v6, v9, 0
	v_add_co_u32_e32 v4, vcc, v11, v7
	v_addc_co_u32_e32 v4, vcc, v12, v8, vcc
	v_addc_co_u32_e32 v7, vcc, 0, v10, vcc
	v_add_co_u32_e32 v4, vcc, v4, v9
	v_addc_co_u32_e32 v9, vcc, 0, v7, vcc
	v_mul_lo_u32 v10, s19, v4
	v_mul_lo_u32 v11, s18, v9
	v_mad_u64_u32 v[7:8], s[0:1], s18, v4, 0
	v_add3_u32 v8, v8, v11, v10
	v_sub_u32_e32 v10, v6, v8
	v_mov_b32_e32 v11, s19
	v_sub_co_u32_e32 v7, vcc, v5, v7
	v_subb_co_u32_e64 v10, s[0:1], v10, v11, vcc
	v_subrev_co_u32_e64 v11, s[0:1], s18, v7
	v_subbrev_co_u32_e64 v10, s[0:1], 0, v10, s[0:1]
	v_cmp_le_u32_e64 s[0:1], s19, v10
	v_cndmask_b32_e64 v12, 0, -1, s[0:1]
	v_cmp_le_u32_e64 s[0:1], s18, v11
	v_cndmask_b32_e64 v11, 0, -1, s[0:1]
	v_cmp_eq_u32_e64 s[0:1], s19, v10
	v_cndmask_b32_e64 v10, v12, v11, s[0:1]
	v_add_co_u32_e64 v11, s[0:1], 2, v4
	v_addc_co_u32_e64 v12, s[0:1], 0, v9, s[0:1]
	v_add_co_u32_e64 v13, s[0:1], 1, v4
	v_addc_co_u32_e64 v14, s[0:1], 0, v9, s[0:1]
	v_subb_co_u32_e32 v8, vcc, v6, v8, vcc
	v_cmp_ne_u32_e64 s[0:1], 0, v10
	v_cmp_le_u32_e32 vcc, s19, v8
	v_cndmask_b32_e64 v10, v14, v12, s[0:1]
	v_cndmask_b32_e64 v12, 0, -1, vcc
	v_cmp_le_u32_e32 vcc, s18, v7
	v_cndmask_b32_e64 v7, 0, -1, vcc
	v_cmp_eq_u32_e32 vcc, s19, v8
	v_cndmask_b32_e32 v7, v12, v7, vcc
	v_cmp_ne_u32_e32 vcc, 0, v7
	v_cndmask_b32_e64 v7, v13, v11, s[0:1]
	v_cndmask_b32_e32 v8, v9, v10, vcc
	v_cndmask_b32_e32 v7, v4, v7, vcc
.LBB0_4:                                ;   in Loop: Header=BB0_2 Depth=1
	s_andn2_saveexec_b64 s[0:1], s[20:21]
	s_cbranch_execz .LBB0_6
; %bb.5:                                ;   in Loop: Header=BB0_2 Depth=1
	v_cvt_f32_u32_e32 v4, s18
	s_sub_i32 s20, 0, s18
	v_rcp_iflag_f32_e32 v4, v4
	v_mul_f32_e32 v4, 0x4f7ffffe, v4
	v_cvt_u32_f32_e32 v4, v4
	v_mul_lo_u32 v7, s20, v4
	v_mul_hi_u32 v7, v4, v7
	v_add_u32_e32 v4, v4, v7
	v_mul_hi_u32 v4, v5, v4
	v_mul_lo_u32 v7, v4, s18
	v_add_u32_e32 v8, 1, v4
	v_sub_u32_e32 v7, v5, v7
	v_subrev_u32_e32 v9, s18, v7
	v_cmp_le_u32_e32 vcc, s18, v7
	v_cndmask_b32_e32 v7, v7, v9, vcc
	v_cndmask_b32_e32 v4, v4, v8, vcc
	v_add_u32_e32 v8, 1, v4
	v_cmp_le_u32_e32 vcc, s18, v7
	v_cndmask_b32_e32 v7, v4, v8, vcc
	v_mov_b32_e32 v8, v3
.LBB0_6:                                ;   in Loop: Header=BB0_2 Depth=1
	s_or_b64 exec, exec, s[0:1]
	v_mul_lo_u32 v4, v8, s18
	v_mul_lo_u32 v11, v7, s19
	v_mad_u64_u32 v[9:10], s[0:1], v7, s18, 0
	s_load_dwordx2 s[0:1], s[6:7], 0x0
	s_add_u32 s16, s16, 1
	v_add3_u32 v4, v10, v11, v4
	v_sub_co_u32_e32 v5, vcc, v5, v9
	v_subb_co_u32_e32 v4, vcc, v6, v4, vcc
	s_waitcnt lgkmcnt(0)
	v_mul_lo_u32 v4, s0, v4
	v_mul_lo_u32 v6, s1, v5
	v_mad_u64_u32 v[1:2], s[0:1], s0, v5, v[1:2]
	s_addc_u32 s17, s17, 0
	s_add_u32 s6, s6, 8
	v_add3_u32 v2, v6, v2, v4
	v_mov_b32_e32 v4, s10
	v_mov_b32_e32 v5, s11
	s_addc_u32 s7, s7, 0
	v_cmp_ge_u64_e32 vcc, s[16:17], v[4:5]
	s_add_u32 s14, s14, 8
	s_addc_u32 s15, s15, 0
	s_cbranch_vccnz .LBB0_9
; %bb.7:                                ;   in Loop: Header=BB0_2 Depth=1
	v_mov_b32_e32 v5, v7
	v_mov_b32_e32 v6, v8
	s_branch .LBB0_2
.LBB0_8:
	v_mov_b32_e32 v8, v6
	v_mov_b32_e32 v7, v5
.LBB0_9:
	s_lshl_b64 s[0:1], s[10:11], 3
	s_add_u32 s0, s12, s0
	s_addc_u32 s1, s13, s1
	s_load_dwordx2 s[6:7], s[0:1], 0x0
	s_load_dwordx2 s[10:11], s[4:5], 0x20
                                        ; implicit-def: $vgpr26
                                        ; implicit-def: $vgpr28
                                        ; implicit-def: $vgpr33
                                        ; implicit-def: $vgpr19
                                        ; implicit-def: $vgpr37
                                        ; implicit-def: $vgpr35
                                        ; implicit-def: $vgpr31
                                        ; implicit-def: $vgpr16
                                        ; implicit-def: $vgpr22
                                        ; implicit-def: $vgpr17
                                        ; implicit-def: $vgpr23
                                        ; implicit-def: $vgpr20
                                        ; implicit-def: $vgpr24
                                        ; implicit-def: $vgpr30
	s_waitcnt lgkmcnt(0)
	v_mul_lo_u32 v4, s6, v8
	v_mul_lo_u32 v5, s7, v7
	v_mad_u64_u32 v[2:3], s[0:1], s6, v7, v[1:2]
	v_cmp_gt_u64_e32 vcc, s[10:11], v[7:8]
	v_cmp_le_u64_e64 s[0:1], s[10:11], v[7:8]
	v_add3_u32 v3, v5, v3, v4
	s_and_saveexec_b64 s[4:5], s[0:1]
	s_xor_b64 s[0:1], exec, s[4:5]
	s_cbranch_execz .LBB0_11
; %bb.10:
	v_mov_b32_e32 v1, 0
	v_or_b32_e32 v26, 0x80, v0
	v_or_b32_e32 v28, 0x100, v0
	;; [unrolled: 1-line block ×13, first 2 shown]
	v_mov_b32_e32 v27, v1
	v_mov_b32_e32 v29, v1
	;; [unrolled: 1-line block ×6, first 2 shown]
	v_or_b32_e32 v30, 0x700, v0
.LBB0_11:
	s_or_saveexec_b64 s[4:5], s[0:1]
	v_lshlrev_b64 v[14:15], 2, v[2:3]
	v_lshlrev_b32_e32 v39, 2, v0
                                        ; implicit-def: $vgpr48
                                        ; implicit-def: $vgpr43
                                        ; implicit-def: $vgpr49
                                        ; implicit-def: $vgpr46
                                        ; implicit-def: $vgpr60
                                        ; implicit-def: $vgpr7
                                        ; implicit-def: $vgpr66
                                        ; implicit-def: $vgpr25
                                        ; implicit-def: $vgpr67
                                        ; implicit-def: $vgpr42
                                        ; implicit-def: $vgpr61
                                        ; implicit-def: $vgpr40
                                        ; implicit-def: $vgpr62
                                        ; implicit-def: $vgpr2
                                        ; implicit-def: $vgpr63
                                        ; implicit-def: $vgpr4
                                        ; implicit-def: $vgpr64
                                        ; implicit-def: $vgpr51
                                        ; implicit-def: $vgpr65
                                        ; implicit-def: $vgpr52
                                        ; implicit-def: $vgpr53
                                        ; implicit-def: $vgpr68
                                        ; implicit-def: $vgpr56
                                        ; implicit-def: $vgpr5
                                        ; implicit-def: $vgpr57
                                        ; implicit-def: $vgpr10
                                        ; implicit-def: $vgpr58
                                        ; implicit-def: $vgpr13
                                        ; implicit-def: $vgpr59
                                        ; implicit-def: $vgpr50
                                        ; implicit-def: $vgpr11
                                        ; implicit-def: $vgpr6
                                        ; implicit-def: $vgpr12
                                        ; implicit-def: $vgpr9
                                        ; implicit-def: $vgpr41
                                        ; implicit-def: $vgpr55
                                        ; implicit-def: $vgpr3
                                        ; implicit-def: $vgpr54
                                        ; implicit-def: $vgpr8
                                        ; implicit-def: $vgpr69
                                        ; implicit-def: $vgpr45
                                        ; implicit-def: $vgpr18
                                        ; implicit-def: $vgpr44
                                        ; implicit-def: $vgpr21
                                        ; implicit-def: $vgpr47
	s_xor_b64 exec, exec, s[4:5]
	s_cbranch_execz .LBB0_13
; %bb.12:
	v_mov_b32_e32 v1, s3
	v_add_co_u32_e64 v38, s[0:1], s2, v14
	v_addc_co_u32_e64 v48, s[0:1], v1, v15, s[0:1]
	v_add_co_u32_e64 v9, s[0:1], v38, v39
	v_or_b32_e32 v17, 0x480, v0
	v_addc_co_u32_e64 v10, s[0:1], 0, v48, s[0:1]
	v_lshlrev_b32_e32 v1, 2, v17
	v_add_co_u32_e64 v1, s[0:1], v38, v1
	v_or_b32_e32 v20, 0x600, v0
	v_addc_co_u32_e64 v2, s[0:1], 0, v48, s[0:1]
	v_lshlrev_b32_e32 v3, 2, v20
	v_add_co_u32_e64 v3, s[0:1], v38, v3
	v_addc_co_u32_e64 v4, s[0:1], 0, v48, s[0:1]
	global_load_dword v7, v[3:4], off
	global_load_dword v18, v[1:2], off
	v_or_b32_e32 v3, 0x1e00, v39
	v_add_co_u32_e64 v4, s[0:1], v38, v3
	v_addc_co_u32_e64 v5, s[0:1], 0, v48, s[0:1]
	v_or_b32_e32 v3, 0x2400, v39
	v_add_co_u32_e64 v11, s[0:1], v38, v3
	v_addc_co_u32_e64 v12, s[0:1], 0, v48, s[0:1]
	;; [unrolled: 3-line block ×4, first 2 shown]
	v_or_b32_e32 v3, 0x3600, v39
	v_add_co_u32_e64 v28, s[0:1], v38, v3
	v_or_b32_e32 v16, 0x380, v0
	v_addc_co_u32_e64 v29, s[0:1], 0, v48, s[0:1]
	v_lshlrev_b32_e32 v1, 2, v16
	v_add_co_u32_e64 v30, s[0:1], v38, v1
	v_or_b32_e32 v19, 0x500, v0
	v_addc_co_u32_e64 v31, s[0:1], 0, v48, s[0:1]
	v_lshlrev_b32_e32 v1, 2, v19
	;; [unrolled: 4-line block ×3, first 2 shown]
	global_load_dword v21, v[28:29], off
	global_load_dword v2, v[30:31], off
	;; [unrolled: 1-line block ×8, first 2 shown]
	global_load_dword v40, v[9:10], off offset:512
	v_add_co_u32_e64 v4, s[0:1], v38, v1
	v_addc_co_u32_e64 v5, s[0:1], 0, v48, s[0:1]
	v_or_b32_e32 v1, 0x2000, v39
	v_add_co_u32_e64 v11, s[0:1], v38, v1
	v_addc_co_u32_e64 v12, s[0:1], 0, v48, s[0:1]
	v_or_b32_e32 v1, 0x2600, v39
	v_add_co_u32_e64 v26, s[0:1], v38, v1
	v_addc_co_u32_e64 v27, s[0:1], 0, v48, s[0:1]
	v_or_b32_e32 v1, 0x2c00, v39
	v_add_co_u32_e64 v28, s[0:1], v38, v1
	v_addc_co_u32_e64 v29, s[0:1], 0, v48, s[0:1]
	v_or_b32_e32 v1, 0x3200, v39
	v_add_co_u32_e64 v30, s[0:1], v38, v1
	v_addc_co_u32_e64 v31, s[0:1], 0, v48, s[0:1]
	v_or_b32_e32 v1, 0x3800, v39
	v_add_co_u32_e64 v32, s[0:1], v38, v1
	v_or_b32_e32 v22, 0x400, v0
	v_addc_co_u32_e64 v33, s[0:1], 0, v48, s[0:1]
	v_lshlrev_b32_e32 v1, 2, v22
	v_add_co_u32_e64 v34, s[0:1], v38, v1
	v_or_b32_e32 v23, 0x580, v0
	v_addc_co_u32_e64 v35, s[0:1], 0, v48, s[0:1]
	v_lshlrev_b32_e32 v1, 2, v23
	v_add_co_u32_e64 v36, s[0:1], v38, v1
	global_load_dword v4, v[4:5], off
	v_addc_co_u32_e64 v37, s[0:1], 0, v48, s[0:1]
	global_load_dword v69, v[9:10], off offset:2048
	global_load_dword v8, v[32:33], off
	global_load_dword v5, v[34:35], off
	;; [unrolled: 1-line block ×7, first 2 shown]
	global_load_dword v46, v[9:10], off offset:3072
	global_load_dword v41, v[9:10], off offset:2560
	;; [unrolled: 1-line block ×4, first 2 shown]
	v_or_b32_e32 v30, 0x700, v0
	v_lshlrev_b32_e32 v1, 2, v30
	v_add_co_u32_e64 v9, s[0:1], v38, v1
	v_addc_co_u32_e64 v10, s[0:1], 0, v48, s[0:1]
	v_or_b32_e32 v1, 0x2200, v39
	v_add_co_u32_e64 v26, s[0:1], v38, v1
	v_addc_co_u32_e64 v27, s[0:1], 0, v48, s[0:1]
	v_or_b32_e32 v1, 0x2800, v39
	;; [unrolled: 3-line block ×5, first 2 shown]
	global_load_dword v10, v[9:10], off
	v_add_co_u32_e64 v33, s[0:1], v38, v1
	global_load_dword v13, v[11:12], off
	v_addc_co_u32_e64 v34, s[0:1], 0, v48, s[0:1]
	global_load_dword v9, v[33:34], off
	global_load_dword v50, v[31:32], off
	;; [unrolled: 1-line block ×4, first 2 shown]
	v_mov_b32_e32 v1, 0
	s_waitcnt vmcnt(20)
	v_lshrrev_b32_e32 v48, 16, v43
	v_or_b32_e32 v37, 0x180, v0
	v_mov_b32_e32 v38, v1
	v_or_b32_e32 v31, 0x300, v0
	v_mov_b32_e32 v32, v1
	v_lshrrev_b32_e32 v60, 16, v7
	v_lshrrev_b32_e32 v66, 16, v25
	;; [unrolled: 1-line block ×3, first 2 shown]
	v_or_b32_e32 v26, 0x80, v0
	v_mov_b32_e32 v27, v1
	s_waitcnt vmcnt(19)
	v_lshrrev_b32_e32 v61, 16, v40
	v_or_b32_e32 v35, 0x200, v0
	v_mov_b32_e32 v36, v1
	v_lshrrev_b32_e32 v62, 16, v2
	v_or_b32_e32 v28, 0x100, v0
	v_mov_b32_e32 v29, v1
	v_or_b32_e32 v33, 0x280, v0
	v_mov_b32_e32 v34, v1
	s_waitcnt vmcnt(15)
	v_lshrrev_b32_e32 v56, 16, v5
	s_waitcnt vmcnt(13)
	v_lshrrev_b32_e32 v65, 16, v52
	;; [unrolled: 2-line block ×3, first 2 shown]
	v_lshrrev_b32_e32 v63, 16, v4
	s_waitcnt vmcnt(9)
	v_lshrrev_b32_e32 v49, 16, v46
	s_waitcnt vmcnt(6)
	;; [unrolled: 2-line block ×5, first 2 shown]
	v_lshrrev_b32_e32 v59, 16, v50
.LBB0_13:
	s_or_b64 exec, exec, s[4:5]
	v_add_f16_e32 v70, v7, v25
	v_fma_f16 v72, v70, -0.5, v43
	v_sub_f16_e32 v70, v49, v67
	s_movk_i32 s0, 0x3b9c
	v_sub_f16_e32 v71, v46, v7
	v_sub_f16_e32 v74, v42, v25
	s_mov_b32 s5, 0xbb9c
	v_fma_f16 v73, v70, s0, v72
	v_add_f16_e32 v74, v71, v74
	v_sub_f16_e32 v71, v60, v66
	s_movk_i32 s4, 0x38b4
	v_fma_f16 v72, v70, s5, v72
	s_mov_b32 s1, 0xb8b4
	v_fma_f16 v73, v71, s4, v73
	s_movk_i32 s6, 0x34f2
	v_fma_f16 v72, v71, s1, v72
	v_fma_f16 v77, v74, s6, v73
	;; [unrolled: 1-line block ×3, first 2 shown]
	v_pk_add_f16 v72, v18, v45 neg_lo:[0,1] neg_hi:[0,1]
	v_pk_add_f16 v73, v21, v44 neg_lo:[0,1] neg_hi:[0,1]
	v_pk_add_f16 v74, v72, v73
	v_add_f16_e32 v72, v45, v44
	v_fma_f16 v73, v72, -0.5, v47
	v_pk_add_f16 v72, v18, v21 neg_lo:[0,1] neg_hi:[0,1]
	v_lshrrev_b32_e32 v75, 16, v72
	v_fma_f16 v76, v75, s0, v73
	v_fma_f16 v75, v75, s5, v73
	s_mov_b32 s7, 0xffff
	v_pk_add_f16 v73, v45, v44 neg_lo:[0,1] neg_hi:[0,1]
	v_bfi_b32 v74, s7, v74, v73
	s_mov_b32 s11, 0x38b434f2
	v_pk_mul_f16 v79, v74, s11
	v_sub_f16_sdwa v75, v75, v79 dst_sel:DWORD dst_unused:UNUSED_PAD src0_sel:DWORD src1_sel:WORD_1
	v_add_f16_sdwa v74, v79, v76 dst_sel:DWORD dst_unused:UNUSED_PAD src0_sel:WORD_1 src1_sel:DWORD
	v_add_f16_e32 v91, v79, v75
	v_sub_f16_sdwa v75, v18, v45 dst_sel:DWORD dst_unused:UNUSED_PAD src0_sel:WORD_1 src1_sel:WORD_1
	v_sub_f16_sdwa v76, v21, v44 dst_sel:DWORD dst_unused:UNUSED_PAD src0_sel:WORD_1 src1_sel:WORD_1
	v_add_f16_e32 v74, v79, v74
	v_add_f16_e32 v79, v75, v76
	v_lshrrev_b32_e32 v76, 16, v47
	v_add_f16_sdwa v75, v45, v44 dst_sel:DWORD dst_unused:UNUSED_PAD src0_sel:WORD_1 src1_sel:WORD_1
	v_fma_f16 v80, v75, -0.5, v76
	v_fma_f16 v75, v72, s5, v80
	v_fma_f16 v80, v72, s0, v80
	v_fma_f16 v75, v73, s1, v75
	v_fma_f16 v80, v73, s4, v80
	v_fma_f16 v75, v79, s6, v75
	v_fma_f16 v92, v79, s6, v80
	v_add_f16_e32 v79, v43, v46
	v_add_f16_e32 v80, v47, v18
	;; [unrolled: 1-line block ×9, first 2 shown]
	v_sub_f16_e32 v79, v79, v80
	s_movk_i32 s10, 0x3a79
	v_mul_f16_e32 v80, 0x38b4, v75
	v_fma_f16 v80, v74, s10, v80
	v_add_f16_e32 v82, v77, v80
	v_sub_f16_e32 v77, v77, v80
	v_mul_f16_e32 v80, 0x3a79, v91
	v_fma_f16 v80, v92, s4, -v80
	v_add_f16_e32 v83, v78, v80
	v_pack_b32_f16 v81, v81, v82
	v_mul_u32_u24_e32 v82, 10, v0
	v_sub_f16_e32 v78, v78, v80
	v_lshl_add_u32 v93, v82, 1, 0
	v_pack_b32_f16 v79, v83, v79
	ds_write_b32 v93, v81
	ds_write_b32 v93, v79 offset:8
	ds_write_b16 v93, v77 offset:12
	ds_write_b16 v93, v78 offset:18
	v_pk_add_f16 v77, v55, v3 neg_lo:[0,1] neg_hi:[0,1]
	v_pk_add_f16 v78, v54, v8 neg_lo:[0,1] neg_hi:[0,1]
	v_pk_add_f16 v77, v77, v78
	v_pk_add_f16 v78, v3, v8
	v_pk_add_f16 v79, v55, v54 neg_lo:[0,1] neg_hi:[0,1]
	v_pk_fma_f16 v78, v78, 0.5, v69 op_sel_hi:[1,0,1] neg_lo:[1,0,0] neg_hi:[1,0,0]
	v_pk_mul_f16 v81, v79, s0 op_sel_hi:[1,0]
	v_sub_f16_e32 v80, v2, v4
	v_sub_f16_e32 v84, v52, v51
	v_pk_add_f16 v82, v81, v78 op_sel:[1,0] op_sel_hi:[0,1]
	v_pk_add_f16 v78, v78, v81 op_sel:[0,1] op_sel_hi:[1,0] neg_lo:[0,1] neg_hi:[0,1]
	v_pk_add_f16 v81, v3, v8 neg_lo:[0,1] neg_hi:[0,1]
	v_add_f16_e32 v80, v80, v84
	v_sub_f16_e32 v84, v4, v2
	v_sub_f16_e32 v85, v51, v52
	v_pk_mul_f16 v83, v81, s4 op_sel_hi:[1,0]
	v_add_f16_e32 v84, v84, v85
	v_add_f16_e32 v85, v2, v52
	v_pk_add_f16 v82, v82, v83 op_sel:[0,1] op_sel_hi:[1,0] neg_lo:[0,1] neg_hi:[0,1]
	v_pk_add_f16 v78, v83, v78 op_sel:[1,0] op_sel_hi:[0,1]
	v_fma_f16 v85, v85, -0.5, v40
	v_sub_f16_e32 v87, v63, v64
	v_pk_fma_f16 v94, v77, s6, v82 op_sel_hi:[1,0,1]
	v_pk_fma_f16 v95, v77, s6, v78 op_sel_hi:[1,0,1]
	v_sub_f16_e32 v86, v62, v65
	v_fma_f16 v88, v87, s5, v85
	v_fma_f16 v85, v87, s0, v85
	v_mul_f16_e32 v77, 0x34f2, v95
	v_lshrrev_b32_e32 v78, 16, v94
	v_fma_f16 v88, v86, s4, v88
	v_fma_f16 v85, v86, s1, v85
	;; [unrolled: 1-line block ×3, first 2 shown]
	v_mul_f16_e32 v78, 0x34f2, v94
	v_lshrrev_b32_e32 v82, 16, v95
	v_fma_f16 v88, v84, s6, v88
	v_fma_f16 v84, v84, s6, v85
	v_fma_f16 v78, v82, s0, -v78
	v_add_f16_e32 v82, v88, v77
	v_add_f16_e32 v83, v84, v78
	v_pack_b32_f16 v82, v82, v83
	v_add_f16_e32 v83, v4, v51
	v_fma_f16 v83, v83, -0.5, v40
	v_add_f16_e32 v40, v40, v2
	v_pk_add_f16 v85, v3, v55 neg_lo:[0,1] neg_hi:[0,1]
	v_pk_add_f16 v89, v8, v54 neg_lo:[0,1] neg_hi:[0,1]
	v_add_f16_e32 v40, v40, v4
	v_pk_add_f16 v85, v85, v89
	v_sub_f16_sdwa v89, v3, v55 dst_sel:DWORD dst_unused:UNUSED_PAD src0_sel:WORD_1 src1_sel:WORD_1
	v_sub_f16_sdwa v90, v8, v54 dst_sel:DWORD dst_unused:UNUSED_PAD src0_sel:WORD_1 src1_sel:WORD_1
	v_add_f16_e32 v40, v40, v51
	v_add_f16_e32 v89, v89, v90
	;; [unrolled: 1-line block ×3, first 2 shown]
	v_fma_f16 v40, v86, s0, v83
	v_fma_f16 v40, v87, s4, v40
	;; [unrolled: 1-line block ×3, first 2 shown]
	v_add_f16_e32 v40, v69, v3
	v_add_f16_e32 v40, v40, v55
	;; [unrolled: 1-line block ×5, first 2 shown]
	v_fma_f16 v98, v40, -0.5, v69
	v_bfi_b32 v40, s7, v85, v79
	v_lshrrev_b32_e32 v99, 16, v81
	v_pk_mul_f16 v85, v40, s11
	v_fma_f16 v40, v99, s0, v98
	v_add_f16_sdwa v40, v85, v40 dst_sel:DWORD dst_unused:UNUSED_PAD src0_sel:WORD_1 src1_sel:DWORD
	v_add_f16_e32 v100, v85, v40
	v_lshrrev_b32_e32 v101, 16, v69
	v_add_f16_sdwa v40, v55, v54 dst_sel:DWORD dst_unused:UNUSED_PAD src0_sel:WORD_1 src1_sel:WORD_1
	v_fma_f16 v69, v40, -0.5, v101
	v_fma_f16 v40, v81, s5, v69
	v_fma_f16 v40, v79, s1, v40
	v_fma_f16 v102, v89, s6, v40
	v_mul_f16_e32 v40, 0x38b4, v102
	v_fma_f16 v103, v100, s10, v40
	v_add_f16_e32 v40, v90, v97
	v_add_f16_e32 v104, v96, v103
	v_pack_b32_f16 v104, v40, v104
	v_mul_i32_i24_e32 v40, 10, v26
	v_lshl_add_u32 v40, v40, 1, 0
	ds_write2_b32 v40, v104, v82 offset1:1
	v_fma_f16 v82, v86, s5, v83
	v_fma_f16 v82, v87, s1, v82
	;; [unrolled: 1-line block ×4, first 2 shown]
	v_sub_f16_sdwa v82, v82, v85 dst_sel:DWORD dst_unused:UNUSED_PAD src0_sel:DWORD src1_sel:WORD_1
	v_fma_f16 v69, v81, s0, v69
	v_add_f16_e32 v98, v85, v82
	v_fma_f16 v69, v79, s4, v69
	v_sub_f16_e32 v79, v96, v103
	v_sub_f16_e32 v77, v88, v77
	v_fma_f16 v99, v89, s6, v69
	v_pack_b32_f16 v77, v79, v77
	v_mul_f16_e32 v79, 0x3a79, v98
	v_fma_f16 v79, v99, s4, -v79
	v_sub_f16_e32 v69, v90, v97
	v_add_f16_e32 v81, v80, v79
	v_pack_b32_f16 v69, v81, v69
	ds_write2_b32 v40, v69, v77 offset0:2 offset1:3
	v_sub_f16_e32 v69, v80, v79
	v_sub_f16_e32 v77, v5, v10
	v_sub_f16_e32 v79, v50, v13
	v_add_f16_e32 v77, v77, v79
	v_sub_f16_e32 v79, v10, v5
	v_sub_f16_e32 v80, v13, v50
	v_add_f16_e32 v79, v79, v80
	v_add_f16_e32 v80, v5, v50
	v_fma_f16 v80, v80, -0.5, v68
	v_sub_f16_e32 v82, v57, v58
	v_sub_f16_e32 v81, v56, v59
	v_fma_f16 v83, v82, s5, v80
	v_fma_f16 v80, v82, s0, v80
	;; [unrolled: 1-line block ×6, first 2 shown]
	s_waitcnt vmcnt(0)
	v_pk_add_f16 v80, v6, v11 neg_lo:[0,1] neg_hi:[0,1]
	v_pk_add_f16 v85, v9, v12 neg_lo:[0,1] neg_hi:[0,1]
	v_pk_add_f16 v80, v80, v85
	v_sub_f16_sdwa v85, v6, v11 dst_sel:DWORD dst_unused:UNUSED_PAD src0_sel:WORD_1 src1_sel:WORD_1
	v_sub_f16_sdwa v86, v9, v12 dst_sel:DWORD dst_unused:UNUSED_PAD src0_sel:WORD_1 src1_sel:WORD_1
	v_add_f16_e32 v85, v85, v86
	v_pk_add_f16 v86, v11, v6 neg_lo:[0,1] neg_hi:[0,1]
	v_pk_add_f16 v87, v12, v9 neg_lo:[0,1] neg_hi:[0,1]
	v_pk_add_f16 v86, v86, v87
	v_pk_add_f16 v87, v6, v9
	v_pk_add_f16 v88, v11, v12 neg_lo:[0,1] neg_hi:[0,1]
	v_pk_fma_f16 v87, v87, 0.5, v41 op_sel_hi:[1,0,1] neg_lo:[1,0,0] neg_hi:[1,0,0]
	v_pk_mul_f16 v89, v88, s0 op_sel_hi:[1,0]
	v_pk_add_f16 v90, v89, v87 op_sel:[1,0] op_sel_hi:[0,1]
	v_pk_add_f16 v87, v87, v89 op_sel:[0,1] op_sel_hi:[1,0] neg_lo:[0,1] neg_hi:[0,1]
	v_pk_add_f16 v89, v6, v9 neg_lo:[0,1] neg_hi:[0,1]
	v_pk_mul_f16 v96, v89, s4 op_sel_hi:[1,0]
	v_pk_add_f16 v90, v90, v96 op_sel:[0,1] op_sel_hi:[1,0] neg_lo:[0,1] neg_hi:[0,1]
	v_pk_add_f16 v87, v96, v87 op_sel:[1,0] op_sel_hi:[0,1]
	v_pk_fma_f16 v96, v86, s6, v90 op_sel_hi:[1,0,1]
	v_pk_fma_f16 v97, v86, s6, v87 op_sel_hi:[1,0,1]
	v_mul_f16_e32 v86, 0x34f2, v97
	v_lshrrev_b32_e32 v87, 16, v96
	v_fma_f16 v86, v87, s0, v86
	v_mul_f16_e32 v87, 0x34f2, v96
	v_lshrrev_b32_e32 v90, 16, v97
	v_sub_f16_e32 v78, v84, v78
	v_add_f16_e32 v103, v11, v12
	v_fma_f16 v87, v90, s0, -v87
	v_pack_b32_f16 v69, v78, v69
	v_add_f16_e32 v90, v41, v6
	v_fma_f16 v103, v103, -0.5, v41
	v_lshrrev_b32_e32 v106, 16, v41
	v_add_f16_sdwa v41, v11, v12 dst_sel:DWORD dst_unused:UNUSED_PAD src0_sel:WORD_1 src1_sel:WORD_1
	ds_write_b32 v40, v69 offset:16
	v_add_f16_e32 v69, v83, v86
	v_add_f16_e32 v78, v79, v87
	v_fma_f16 v107, v41, -0.5, v106
	v_pack_b32_f16 v69, v69, v78
	v_add_f16_e32 v78, v10, v13
	v_bfi_b32 v80, s7, v80, v88
	v_lshrrev_b32_e32 v104, 16, v89
	v_fma_f16 v41, v89, s5, v107
	v_fma_f16 v78, v78, -0.5, v68
	v_add_f16_e32 v68, v68, v5
	v_pk_mul_f16 v80, v80, s11
	v_fma_f16 v105, v104, s0, v103
	v_fma_f16 v41, v88, s1, v41
	v_add_f16_e32 v68, v68, v10
	v_fma_f16 v84, v81, s0, v78
	v_add_f16_e32 v90, v90, v11
	v_add_f16_sdwa v105, v80, v105 dst_sel:DWORD dst_unused:UNUSED_PAD src0_sel:WORD_1 src1_sel:DWORD
	v_fma_f16 v108, v85, s6, v41
	v_add_f16_e32 v68, v68, v13
	v_fma_f16 v84, v82, s4, v84
	v_add_f16_e32 v90, v90, v12
	v_add_f16_e32 v105, v80, v105
	v_mul_f16_e32 v41, 0x38b4, v108
	v_add_f16_e32 v68, v68, v50
	v_fma_f16 v84, v77, s6, v84
	v_add_f16_e32 v90, v90, v9
	v_fma_f16 v109, v105, s10, v41
	v_add_f16_e32 v41, v68, v90
	v_add_f16_e32 v110, v84, v109
	v_pack_b32_f16 v110, v41, v110
	v_mul_i32_i24_e32 v41, 10, v28
	v_lshl_add_u32 v41, v41, 1, 0
	ds_write2_b32 v41, v110, v69 offset1:1
	v_fma_f16 v69, v81, s5, v78
	v_fma_f16 v69, v82, s1, v69
	;; [unrolled: 1-line block ×4, first 2 shown]
	v_sub_f16_sdwa v77, v77, v80 dst_sel:DWORD dst_unused:UNUSED_PAD src0_sel:DWORD src1_sel:WORD_1
	v_add_f16_e32 v103, v80, v77
	v_fma_f16 v77, v89, s0, v107
	v_fma_f16 v77, v88, s4, v77
	;; [unrolled: 1-line block ×3, first 2 shown]
	v_sub_f16_e32 v77, v84, v109
	v_sub_f16_e32 v78, v83, v86
	v_pack_b32_f16 v77, v77, v78
	v_mul_f16_e32 v78, 0x3a79, v103
	v_fma_f16 v78, v104, s4, -v78
	v_sub_f16_e32 v68, v68, v90
	v_add_f16_e32 v80, v69, v78
	v_pack_b32_f16 v68, v80, v68
	ds_write2_b32 v41, v68, v77 offset0:2 offset1:3
	v_add_f16_e32 v68, v46, v42
	v_fma_f16 v43, v68, -0.5, v43
	v_sub_f16_e32 v68, v7, v46
	v_sub_f16_e32 v77, v25, v42
	;; [unrolled: 1-line block ×6, first 2 shown]
	v_add_f16_e32 v109, v25, v42
	v_add_f16_e32 v42, v48, v49
	;; [unrolled: 1-line block ×4, first 2 shown]
	v_sub_f16_e32 v46, v60, v49
	v_add_f16_e32 v111, v42, v67
	v_sub_f16_e32 v42, v66, v67
	v_add_f16_e32 v42, v46, v42
	v_add_f16_sdwa v46, v76, v18 dst_sel:DWORD dst_unused:UNUSED_PAD src0_sel:DWORD src1_sel:WORD_1
	v_add_f16_sdwa v46, v46, v45 dst_sel:DWORD dst_unused:UNUSED_PAD src0_sel:DWORD src1_sel:WORD_1
	;; [unrolled: 1-line block ×3, first 2 shown]
	v_add_f16_e32 v25, v60, v66
	v_pk_add_f16 v45, v45, v18 neg_lo:[0,1] neg_hi:[0,1]
	v_pk_add_f16 v18, v18, v21
	v_pk_add_f16 v44, v44, v21 neg_lo:[0,1] neg_hi:[0,1]
	v_add_f16_sdwa v112, v46, v21 dst_sel:DWORD dst_unused:UNUSED_PAD src0_sel:DWORD src1_sel:WORD_1
	v_mul_f16_e32 v21, 0xb8b4, v74
	v_fma_f16 v110, v25, -0.5, v48
	v_add_f16_e32 v25, v49, v67
	v_fma_f16 v113, v75, s10, v21
	v_sub_f16_e32 v21, v69, v78
	v_sub_f16_e32 v46, v79, v87
	v_fma_f16 v25, v25, -0.5, v48
	v_pack_b32_f16 v21, v46, v21
	ds_write_b32 v41, v21 offset:16
	v_fma_f16 v21, v7, s0, v25
	v_fma_f16 v25, v7, s5, v25
	;; [unrolled: 1-line block ×4, first 2 shown]
	v_pack_b32_f16 v21, v25, v21
	v_mul_f16_e32 v25, 0x34f2, v42
	v_pk_add_f16 v114, v25, v21 op_sel_hi:[0,1]
	v_pk_fma_f16 v18, v18, 0.5, v47 op_sel_hi:[1,0,1] neg_lo:[1,0,0] neg_hi:[1,0,0]
	v_pk_mul_f16 v25, v73, s0 op_sel_hi:[1,0]
	v_pk_add_f16 v42, v25, v18 op_sel:[1,0] op_sel_hi:[0,1]
	v_pk_add_f16 v18, v18, v25 op_sel:[0,1] op_sel_hi:[1,0] neg_lo:[0,1] neg_hi:[0,1]
	v_pk_mul_f16 v25, v72, s4 op_sel_hi:[1,0]
	v_pk_add_f16 v21, v45, v44
	v_pk_add_f16 v42, v42, v25 op_sel:[0,1] op_sel_hi:[1,0] neg_lo:[0,1] neg_hi:[0,1]
	v_pk_add_f16 v18, v25, v18 op_sel:[1,0] op_sel_hi:[0,1]
	v_pk_fma_f16 v25, v21, s6, v42 op_sel_hi:[1,0,1]
	v_pk_fma_f16 v18, v21, s6, v18 op_sel_hi:[1,0,1]
	v_add_f16_e32 v68, v68, v77
	v_fma_f16 v77, v71, s5, v43
	v_fma_f16 v43, v71, s0, v43
	v_mul_f16_e32 v21, 0x34f2, v18
	v_lshrrev_b32_e32 v42, 16, v25
	v_fma_f16 v71, v70, s4, v77
	v_fma_f16 v43, v70, s1, v43
	;; [unrolled: 1-line block ×3, first 2 shown]
	v_mul_f16_e32 v42, 0x34f2, v25
	v_lshrrev_b32_e32 v44, 16, v18
	s_mov_b32 s12, 0x34f23b9c
	v_fma_f16 v70, v68, s6, v71
	v_fma_f16 v43, v68, s6, v43
	v_fma_f16 v42, v44, s0, -v42
	s_mov_b32 s11, 0x34f2bb9c
	v_pk_mul_f16 v18, v18, s12
	v_pk_fma_f16 v115, v25, s11, v18 op_sel:[0,0,1] op_sel_hi:[1,1,0] neg_lo:[0,0,1] neg_hi:[0,0,1]
	v_add_f16_e32 v18, v70, v21
	v_add_f16_e32 v25, v43, v42
	v_pack_b32_f16 v18, v18, v25
	v_sub_f16_e32 v21, v70, v21
	v_sub_f16_e32 v42, v43, v42
	ds_write_b32 v93, v18 offset:4
	ds_write_b16 v93, v21 offset:14
	ds_write_b16 v93, v42 offset:16
	v_fma_f16 v18, v107, s5, v110
	v_fma_f16 v18, v7, s1, v18
	;; [unrolled: 1-line block ×5, first 2 shown]
	v_mul_f16_e32 v92, 0x3a79, v92
	v_fma_f16 v7, v109, s6, v7
	v_fma_f16 v91, v91, s1, -v92
	v_bfi_b32 v107, s7, v116, v114
	v_bfi_b32 v109, s7, v113, v115
	v_pk_add_f16 v107, v107, v109 neg_lo:[0,1] neg_hi:[0,1]
	v_add_f16_e32 v109, v7, v91
	v_sub_f16_e32 v7, v7, v91
	v_sub_f16_e32 v91, v114, v115
	v_add_f16_e32 v18, v111, v112
	v_add_f16_e32 v21, v116, v113
	s_movk_i32 s13, 0xffee
	v_lshl_add_u32 v43, v33, 1, 0
	v_pack_b32_f16 v7, v91, v7
	v_pack_b32_f16 v117, v18, v21
	s_waitcnt lgkmcnt(0)
	s_barrier
	v_mad_i32_i24 v42, v0, s13, v93
	v_lshl_add_u32 v46, v19, 1, 0
	v_mad_i32_i24 v21, v26, s13, v40
	v_mad_i32_i24 v18, v28, s13, v41
	v_lshl_add_u32 v44, v37, 1, 0
	v_lshl_add_u32 v45, v35, 1, 0
	ds_read_u16 v89, v43
	ds_read_u16 v88, v46
	;; [unrolled: 1-line block ×4, first 2 shown]
	ds_read_u16 v83, v42 offset:1536
	ds_read_u16 v81, v42 offset:1792
	;; [unrolled: 1-line block ×8, first 2 shown]
	ds_read_u16 v48, v18
	ds_read_u16 v49, v21
	ds_read_u16 v25, v45
	ds_read_u16 v82, v42 offset:3072
	ds_read_u16 v85, v42 offset:2816
	;; [unrolled: 1-line block ×15, first 2 shown]
	s_waitcnt lgkmcnt(0)
	s_barrier
	ds_write_b32 v93, v7 offset:16
	v_sub_f16_e32 v4, v4, v51
	v_sub_f16_e32 v7, v62, v63
	;; [unrolled: 1-line block ×4, first 2 shown]
	v_add_f16_e32 v7, v7, v51
	v_add_f16_e32 v51, v63, v64
	v_add_f16_e32 v52, v62, v65
	v_add_f16_sdwa v3, v101, v3 dst_sel:DWORD dst_unused:UNUSED_PAD src0_sel:DWORD src1_sel:WORD_1
	v_fma_f16 v51, v51, -0.5, v61
	v_fma_f16 v52, v52, -0.5, v61
	v_add_f16_e32 v61, v61, v62
	v_add_f16_sdwa v3, v3, v55 dst_sel:DWORD dst_unused:UNUSED_PAD src0_sel:DWORD src1_sel:WORD_1
	v_add_f16_e32 v61, v61, v63
	v_sub_f16_e32 v62, v63, v62
	v_sub_f16_e32 v63, v64, v65
	v_add_f16_sdwa v3, v3, v54 dst_sel:DWORD dst_unused:UNUSED_PAD src0_sel:DWORD src1_sel:WORD_1
	v_fma_f16 v54, v4, s0, v52
	v_fma_f16 v52, v4, s5, v52
	v_add_f16_e32 v62, v62, v63
	v_fma_f16 v54, v2, s1, v54
	v_fma_f16 v52, v2, s4, v52
	v_pack_b32_f16 v52, v52, v54
	v_mul_f16_e32 v54, 0x34f2, v62
	v_fma_f16 v55, v2, s5, v51
	v_add_f16_sdwa v3, v3, v8 dst_sel:DWORD dst_unused:UNUSED_PAD src0_sel:DWORD src1_sel:WORD_1
	v_mul_f16_e32 v8, 0xb8b4, v100
	v_pk_add_f16 v52, v54, v52 op_sel_hi:[0,1]
	v_pk_mul_f16 v54, v95, s12
	v_fma_f16 v55, v4, s1, v55
	v_fma_f16 v2, v2, s0, v51
	v_add_f16_e32 v61, v61, v64
	v_fma_f16 v8, v102, s10, v8
	v_pk_fma_f16 v54, v94, s11, v54 op_sel:[0,0,1] op_sel_hi:[1,1,0] neg_lo:[0,0,1] neg_hi:[0,0,1]
	v_fma_f16 v55, v7, s6, v55
	v_fma_f16 v2, v4, s4, v2
	v_mul_f16_e32 v4, 0x3a79, v99
	v_add_f16_e32 v61, v61, v65
	v_add_f16_e32 v63, v55, v8
	v_fma_f16 v2, v7, s6, v2
	v_fma_f16 v4, v98, s1, -v4
	v_bfi_b32 v7, s7, v55, v52
	v_bfi_b32 v8, s7, v8, v54
	v_pk_add_f16 v118, v114, v115
	v_sub_f16_e32 v92, v111, v112
	v_add_f16_e32 v62, v61, v3
	v_sub_f16_e32 v3, v61, v3
	v_pk_add_f16 v7, v7, v8 neg_lo:[0,1] neg_hi:[0,1]
	v_add_f16_e32 v8, v2, v4
	v_alignbit_b32 v118, v118, v118, 16
	v_pack_b32_f16 v92, v109, v92
	v_pack_b32_f16 v3, v8, v3
	ds_write2_b32 v93, v117, v118 offset1:1
	ds_write2_b32 v93, v92, v107 offset0:2 offset1:3
	ds_write2_b32 v40, v3, v7 offset0:2 offset1:3
	v_sub_f16_e32 v3, v5, v50
	v_sub_f16_e32 v5, v56, v57
	;; [unrolled: 1-line block ×3, first 2 shown]
	v_add_f16_e32 v5, v5, v7
	v_add_f16_e32 v7, v57, v58
	v_fma_f16 v7, v7, -0.5, v53
	v_sub_f16_e32 v2, v2, v4
	v_sub_f16_e32 v4, v10, v13
	v_fma_f16 v8, v3, s5, v7
	v_fma_f16 v7, v3, s0, v7
	;; [unrolled: 1-line block ×6, first 2 shown]
	v_add_f16_e32 v7, v56, v59
	v_fma_f16 v7, v7, -0.5, v53
	v_sub_f16_e32 v13, v57, v56
	v_sub_f16_e32 v50, v58, v59
	v_add_f16_e32 v13, v13, v50
	v_fma_f16 v50, v4, s0, v7
	v_fma_f16 v4, v4, s5, v7
	;; [unrolled: 1-line block ×4, first 2 shown]
	v_add_f16_sdwa v4, v106, v6 dst_sel:DWORD dst_unused:UNUSED_PAD src0_sel:DWORD src1_sel:WORD_1
	v_add_f16_e32 v10, v53, v56
	v_add_f16_sdwa v4, v4, v11 dst_sel:DWORD dst_unused:UNUSED_PAD src0_sel:DWORD src1_sel:WORD_1
	v_add_f16_e32 v10, v10, v57
	;; [unrolled: 2-line block ×3, first 2 shown]
	v_add_f16_sdwa v4, v4, v9 dst_sel:DWORD dst_unused:UNUSED_PAD src0_sel:DWORD src1_sel:WORD_1
	v_mul_f16_e32 v9, 0x3a79, v104
	v_add_f16_e32 v10, v10, v59
	v_fma_f16 v9, v103, s1, -v9
	v_pack_b32_f16 v3, v3, v7
	v_mul_f16_e32 v7, 0x34f2, v13
	v_add_f16_e32 v11, v10, v4
	v_sub_f16_e32 v4, v10, v4
	v_add_f16_e32 v10, v5, v9
	v_sub_f16_e32 v5, v5, v9
	v_pk_add_f16 v3, v7, v3 op_sel_hi:[0,1]
	v_pk_mul_f16 v7, v97, s12
	v_sub_f16_e32 v9, v52, v54
	v_pk_fma_f16 v7, v96, s11, v7 op_sel:[0,0,1] op_sel_hi:[1,1,0] neg_lo:[0,0,1] neg_hi:[0,0,1]
	v_pack_b32_f16 v2, v9, v2
	v_pack_b32_f16 v62, v62, v63
	v_pk_add_f16 v63, v52, v54
	ds_write_b32 v40, v2 offset:16
	v_sub_f16_e32 v2, v3, v7
	v_alignbit_b32 v63, v63, v63, 16
	v_pack_b32_f16 v2, v2, v5
	ds_write2_b32 v40, v62, v63 offset1:1
	v_mul_f16_e32 v6, 0xb8b4, v105
	ds_write_b32 v41, v2 offset:16
	v_mul_lo_u16_e32 v2, 0x67, v0
	v_fma_f16 v6, v108, s10, v6
	v_lshrrev_b16_e32 v50, 10, v2
	v_add_f16_e32 v12, v8, v6
	v_pk_add_f16 v9, v3, v7
	v_bfi_b32 v3, s7, v8, v3
	v_bfi_b32 v6, s7, v6, v7
	v_mul_lo_u16_e32 v2, 10, v50
	v_pk_add_f16 v3, v3, v6 neg_lo:[0,1] neg_hi:[0,1]
	v_sub_u16_e32 v51, v0, v2
	v_mov_b32_e32 v6, 5
	v_mul_u32_u24_sdwa v2, v51, v6 dst_sel:DWORD dst_unused:UNUSED_PAD src0_sel:BYTE_0 src1_sel:DWORD
	v_alignbit_b32 v9, v9, v9, 16
	v_pack_b32_f16 v11, v11, v12
	v_pack_b32_f16 v4, v10, v4
	v_lshlrev_b32_e32 v59, 2, v2
	ds_write2_b32 v41, v11, v9 offset1:1
	ds_write2_b32 v41, v4, v3 offset0:2 offset1:3
	s_waitcnt lgkmcnt(0)
	s_barrier
	global_load_dwordx4 v[2:5], v59, s[8:9]
	s_movk_i32 s0, 0xcd
	v_mul_lo_u16_sdwa v7, v26, s0 dst_sel:DWORD dst_unused:UNUSED_PAD src0_sel:BYTE_0 src1_sel:DWORD
	v_lshrrev_b16_e32 v52, 11, v7
	v_mul_lo_u16_e32 v7, 10, v52
	v_sub_u16_e32 v53, v26, v7
	v_mul_u32_u24_sdwa v6, v53, v6 dst_sel:DWORD dst_unused:UNUSED_PAD src0_sel:BYTE_0 src1_sel:DWORD
	v_lshlrev_b32_e32 v57, 2, v6
	global_load_dwordx4 v[6:9], v57, s[8:9]
	s_mov_b32 s0, 0xcccd
	v_mul_u32_u24_sdwa v10, v28, s0 dst_sel:DWORD dst_unused:UNUSED_PAD src0_sel:WORD_0 src1_sel:DWORD
	v_lshrrev_b32_e32 v54, 19, v10
	v_mul_lo_u16_e32 v10, 10, v54
	v_sub_u16_e32 v55, v28, v10
	v_mul_u32_u24_e32 v10, 5, v55
	v_lshlrev_b32_e32 v58, 2, v10
	global_load_dwordx4 v[10:13], v58, s[8:9]
	global_load_dword v56, v59, s[8:9] offset:16
	ds_read_u16 v61, v43
	ds_read_u16 v59, v46
	;; [unrolled: 1-line block ×6, first 2 shown]
	s_movk_i32 s1, 0x3aee
	v_mul_u32_u24_e32 v50, 0x78, v50
	s_movk_i32 s4, 0x1e0
	s_waitcnt vmcnt(3) lgkmcnt(5)
	v_mul_f16_sdwa v62, v61, v2 dst_sel:DWORD dst_unused:UNUSED_PAD src0_sel:DWORD src1_sel:WORD_1
	v_fma_f16 v99, v89, v2, -v62
	v_mul_u32_u24_sdwa v62, v37, s0 dst_sel:DWORD dst_unused:UNUSED_PAD src0_sel:WORD_0 src1_sel:DWORD
	v_lshrrev_b32_e32 v100, 19, v62
	v_mul_lo_u16_e32 v62, 10, v100
	v_sub_u16_e32 v101, v37, v62
	v_mul_u32_u24_e32 v62, 5, v101
	v_mul_f16_sdwa v89, v89, v2 dst_sel:DWORD dst_unused:UNUSED_PAD src0_sel:DWORD src1_sel:WORD_1
	v_lshlrev_b32_e32 v102, 2, v62
	v_fma_f16 v2, v61, v2, v89
	s_waitcnt lgkmcnt(4)
	v_mul_f16_sdwa v61, v59, v3 dst_sel:DWORD dst_unused:UNUSED_PAD src0_sel:DWORD src1_sel:WORD_1
	global_load_dwordx4 v[62:65], v102, s[8:9]
	v_fma_f16 v61, v88, v3, -v61
	v_mul_f16_sdwa v88, v88, v3 dst_sel:DWORD dst_unused:UNUSED_PAD src0_sel:DWORD src1_sel:WORD_1
	v_fma_f16 v3, v59, v3, v88
	v_mul_u32_u24_sdwa v59, v35, s0 dst_sel:DWORD dst_unused:UNUSED_PAD src0_sel:WORD_0 src1_sel:DWORD
	v_lshrrev_b32_e32 v59, 19, v59
	v_mul_lo_u16_e32 v88, 10, v59
	v_sub_u16_e32 v88, v35, v88
	v_mul_u32_u24_e32 v89, 5, v88
	v_lshlrev_b32_e32 v89, 2, v89
	global_load_dwordx4 v[91:94], v89, s[8:9]
	ds_read_u16 v103, v42 offset:3840
	ds_read_u16 v104, v42 offset:4096
	ds_read_u16 v105, v42 offset:4352
	ds_read_u16 v106, v42 offset:4608
	ds_read_u16 v107, v42 offset:4864
	ds_read_u16 v108, v42 offset:5376
	ds_read_u16 v109, v42 offset:5120
	ds_read_u16 v110, v42 offset:3584
	s_waitcnt lgkmcnt(7)
	v_mul_f16_sdwa v111, v103, v4 dst_sel:DWORD dst_unused:UNUSED_PAD src0_sel:DWORD src1_sel:WORD_1
	v_fma_f16 v111, v90, v4, -v111
	v_mul_f16_sdwa v90, v90, v4 dst_sel:DWORD dst_unused:UNUSED_PAD src0_sel:DWORD src1_sel:WORD_1
	v_fma_f16 v4, v103, v4, v90
	s_waitcnt lgkmcnt(1)
	v_mul_f16_sdwa v90, v109, v5 dst_sel:DWORD dst_unused:UNUSED_PAD src0_sel:DWORD src1_sel:WORD_1
	v_fma_f16 v90, v87, v5, -v90
	v_mul_f16_sdwa v87, v87, v5 dst_sel:DWORD dst_unused:UNUSED_PAD src0_sel:DWORD src1_sel:WORD_1
	v_fma_f16 v5, v109, v5, v87
	ds_read_u16 v87, v42 offset:1536
	ds_read_u16 v103, v42 offset:1792
	;; [unrolled: 1-line block ×4, first 2 shown]
	global_load_dword v57, v57, s[8:9] offset:16
	ds_read_u16 v113, v42 offset:3072
	ds_read_u16 v114, v42 offset:2816
	;; [unrolled: 1-line block ×3, first 2 shown]
	ds_read_u16 v116, v42
	s_waitcnt vmcnt(5) lgkmcnt(7)
	v_mul_f16_sdwa v117, v87, v6 dst_sel:DWORD dst_unused:UNUSED_PAD src0_sel:DWORD src1_sel:WORD_1
	v_fma_f16 v117, v83, v6, -v117
	v_mul_f16_sdwa v83, v83, v6 dst_sel:DWORD dst_unused:UNUSED_PAD src0_sel:DWORD src1_sel:WORD_1
	global_load_dword v58, v58, s[8:9] offset:16
	v_fma_f16 v6, v87, v6, v83
	global_load_dword v87, v89, s[8:9] offset:16
	s_waitcnt lgkmcnt(2)
	v_mul_f16_sdwa v83, v114, v7 dst_sel:DWORD dst_unused:UNUSED_PAD src0_sel:DWORD src1_sel:WORD_1
	v_fma_f16 v118, v85, v7, -v83
	global_load_dword v83, v102, s[8:9] offset:16
	v_mul_f16_sdwa v85, v85, v7 dst_sel:DWORD dst_unused:UNUSED_PAD src0_sel:DWORD src1_sel:WORD_1
	v_fma_f16 v7, v114, v7, v85
	v_mul_f16_sdwa v85, v104, v8 dst_sel:DWORD dst_unused:UNUSED_PAD src0_sel:DWORD src1_sel:WORD_1
	v_fma_f16 v85, v86, v8, -v85
	v_mul_f16_sdwa v86, v86, v8 dst_sel:DWORD dst_unused:UNUSED_PAD src0_sel:DWORD src1_sel:WORD_1
	v_fma_f16 v8, v104, v8, v86
	v_mul_f16_sdwa v86, v108, v9 dst_sel:DWORD dst_unused:UNUSED_PAD src0_sel:DWORD src1_sel:WORD_1
	v_fma_f16 v89, v84, v9, -v86
	v_mul_f16_sdwa v84, v84, v9 dst_sel:DWORD dst_unused:UNUSED_PAD src0_sel:DWORD src1_sel:WORD_1
	v_fma_f16 v9, v108, v9, v84
	s_waitcnt vmcnt(7)
	v_mul_f16_sdwa v84, v103, v10 dst_sel:DWORD dst_unused:UNUSED_PAD src0_sel:DWORD src1_sel:WORD_1
	v_fma_f16 v84, v81, v10, -v84
	v_mul_f16_sdwa v81, v81, v10 dst_sel:DWORD dst_unused:UNUSED_PAD src0_sel:DWORD src1_sel:WORD_1
	v_fma_f16 v10, v103, v10, v81
	v_mul_f16_sdwa v81, v113, v11 dst_sel:DWORD dst_unused:UNUSED_PAD src0_sel:DWORD src1_sel:WORD_1
	v_fma_f16 v102, v82, v11, -v81
	v_mul_f16_sdwa v81, v82, v11 dst_sel:DWORD dst_unused:UNUSED_PAD src0_sel:DWORD src1_sel:WORD_1
	v_fma_f16 v103, v113, v11, v81
	;; [unrolled: 4-line block ×3, first 2 shown]
	ds_read_u16 v80, v42 offset:6912
	ds_read_u16 v81, v42 offset:7168
	;; [unrolled: 1-line block ×8, first 2 shown]
	s_waitcnt lgkmcnt(4)
	v_mul_f16_sdwa v114, v86, v13 dst_sel:DWORD dst_unused:UNUSED_PAD src0_sel:DWORD src1_sel:WORD_1
	v_fma_f16 v114, v79, v13, -v114
	v_mul_f16_sdwa v79, v79, v13 dst_sel:DWORD dst_unused:UNUSED_PAD src0_sel:DWORD src1_sel:WORD_1
	v_fma_f16 v13, v86, v13, v79
	s_mov_b32 s0, 0xbaee
	s_waitcnt vmcnt(0) lgkmcnt(0)
	s_barrier
	v_mul_f16_sdwa v79, v109, v62 dst_sel:DWORD dst_unused:UNUSED_PAD src0_sel:DWORD src1_sel:WORD_1
	v_fma_f16 v79, v78, v62, -v79
	v_mul_f16_sdwa v78, v78, v62 dst_sel:DWORD dst_unused:UNUSED_PAD src0_sel:DWORD src1_sel:WORD_1
	v_fma_f16 v109, v109, v62, v78
	v_mul_f16_sdwa v62, v112, v63 dst_sel:DWORD dst_unused:UNUSED_PAD src0_sel:DWORD src1_sel:WORD_1
	v_fma_f16 v119, v75, v63, -v62
	v_mul_f16_sdwa v62, v75, v63 dst_sel:DWORD dst_unused:UNUSED_PAD src0_sel:DWORD src1_sel:WORD_1
	v_fma_f16 v112, v112, v63, v62
	v_mul_f16_sdwa v63, v73, v64 dst_sel:DWORD dst_unused:UNUSED_PAD src0_sel:DWORD src1_sel:WORD_1
	v_mul_f16_sdwa v62, v106, v64 dst_sel:DWORD dst_unused:UNUSED_PAD src0_sel:DWORD src1_sel:WORD_1
	v_fma_f16 v106, v106, v64, v63
	v_mul_f16_sdwa v63, v104, v65 dst_sel:DWORD dst_unused:UNUSED_PAD src0_sel:DWORD src1_sel:WORD_1
	v_fma_f16 v120, v72, v65, -v63
	v_mul_f16_sdwa v63, v72, v65 dst_sel:DWORD dst_unused:UNUSED_PAD src0_sel:DWORD src1_sel:WORD_1
	v_fma_f16 v62, v73, v64, -v62
	v_fma_f16 v104, v104, v65, v63
	v_mul_f16_sdwa v63, v115, v91 dst_sel:DWORD dst_unused:UNUSED_PAD src0_sel:DWORD src1_sel:WORD_1
	v_mul_f16_sdwa v64, v74, v91 dst_sel:DWORD dst_unused:UNUSED_PAD src0_sel:DWORD src1_sel:WORD_1
	v_fma_f16 v63, v74, v91, -v63
	v_fma_f16 v91, v115, v91, v64
	v_mul_f16_sdwa v64, v110, v92 dst_sel:DWORD dst_unused:UNUSED_PAD src0_sel:DWORD src1_sel:WORD_1
	v_fma_f16 v115, v77, v92, -v64
	v_mul_f16_sdwa v64, v77, v92 dst_sel:DWORD dst_unused:UNUSED_PAD src0_sel:DWORD src1_sel:WORD_1
	v_fma_f16 v92, v110, v92, v64
	v_mul_f16_sdwa v64, v107, v93 dst_sel:DWORD dst_unused:UNUSED_PAD src0_sel:DWORD src1_sel:WORD_1
	v_mul_f16_sdwa v65, v70, v93 dst_sel:DWORD dst_unused:UNUSED_PAD src0_sel:DWORD src1_sel:WORD_1
	v_fma_f16 v64, v70, v93, -v64
	v_fma_f16 v93, v107, v93, v65
	v_mul_f16_sdwa v65, v105, v94 dst_sel:DWORD dst_unused:UNUSED_PAD src0_sel:DWORD src1_sel:WORD_1
	v_fma_f16 v107, v76, v94, -v65
	v_mul_f16_sdwa v65, v76, v94 dst_sel:DWORD dst_unused:UNUSED_PAD src0_sel:DWORD src1_sel:WORD_1
	;; [unrolled: 8-line block ×3, first 2 shown]
	v_fma_f16 v57, v108, v57, v69
	v_mul_f16_sdwa v69, v80, v58 dst_sel:DWORD dst_unused:UNUSED_PAD src0_sel:DWORD src1_sel:WORD_1
	v_fma_f16 v69, v68, v58, -v69
	v_mul_f16_sdwa v68, v68, v58 dst_sel:DWORD dst_unused:UNUSED_PAD src0_sel:DWORD src1_sel:WORD_1
	v_fma_f16 v58, v80, v58, v68
	v_mul_f16_sdwa v68, v81, v83 dst_sel:DWORD dst_unused:UNUSED_PAD src0_sel:DWORD src1_sel:WORD_1
	v_fma_f16 v68, v67, v83, -v68
	v_mul_f16_sdwa v67, v67, v83 dst_sel:DWORD dst_unused:UNUSED_PAD src0_sel:DWORD src1_sel:WORD_1
	;; [unrolled: 4-line block ×3, first 2 shown]
	v_fma_f16 v108, v82, v87, v66
	v_add_f16_e32 v66, v61, v90
	v_fma_f16 v66, v66, -0.5, v60
	v_sub_f16_e32 v71, v3, v5
	v_fma_f16 v72, v71, s1, v66
	v_fma_f16 v66, v71, s0, v66
	v_add_f16_e32 v71, v116, v3
	v_add_f16_e32 v3, v3, v5
	;; [unrolled: 1-line block ×3, first 2 shown]
	v_fma_f16 v3, v3, -0.5, v116
	v_add_f16_e32 v5, v60, v61
	v_sub_f16_e32 v60, v61, v90
	v_fma_f16 v61, v60, s0, v3
	v_fma_f16 v3, v60, s1, v3
	v_add_f16_e32 v60, v111, v65
	v_fma_f16 v60, v60, -0.5, v99
	v_sub_f16_e32 v73, v4, v56
	v_fma_f16 v74, v73, s1, v60
	v_fma_f16 v60, v73, s0, v60
	v_add_f16_e32 v73, v2, v4
	v_add_f16_e32 v4, v4, v56
	;; [unrolled: 1-line block ×3, first 2 shown]
	v_fma_f16 v2, v4, -0.5, v2
	v_add_f16_e32 v4, v99, v111
	v_sub_f16_e32 v56, v111, v65
	v_add_f16_e32 v4, v4, v65
	v_fma_f16 v65, v56, s0, v2
	v_fma_f16 v2, v56, s1, v2
	v_mul_f16_e32 v56, 0x3aee, v65
	v_fma_f16 v56, v74, 0.5, v56
	v_mul_f16_e32 v74, 0xbaee, v74
	v_fma_f16 v65, v65, 0.5, v74
	v_mul_f16_e32 v74, -0.5, v60
	v_fma_f16 v74, v2, s1, v74
	v_mul_f16_e32 v2, -0.5, v2
	v_fma_f16 v2, v60, s0, v2
	v_add_f16_e32 v111, v3, v2
	v_sub_f16_e32 v113, v3, v2
	v_add_f16_e32 v2, v118, v89
	v_add_f16_e32 v5, v5, v90
	v_fma_f16 v2, v2, -0.5, v49
	v_sub_f16_e32 v3, v7, v9
	v_add_f16_e32 v60, v5, v4
	v_sub_f16_e32 v5, v5, v4
	v_fma_f16 v4, v3, s1, v2
	v_fma_f16 v2, v3, s0, v2
	v_add_f16_e32 v3, v85, v70
	v_add_f16_e32 v110, v61, v65
	v_sub_f16_e32 v61, v61, v65
	v_fma_f16 v3, v3, -0.5, v117
	v_sub_f16_e32 v65, v8, v57
	v_fma_f16 v116, v65, s1, v3
	v_fma_f16 v121, v65, s0, v3
	v_add_f16_e32 v3, v117, v85
	v_add_f16_e32 v3, v3, v70
	v_sub_f16_e32 v65, v85, v70
	v_add_f16_e32 v70, v8, v57
	v_fma_f16 v70, v70, -0.5, v6
	v_add_f16_e32 v49, v49, v118
	v_fma_f16 v117, v65, s0, v70
	v_add_f16_e32 v49, v49, v89
	v_fma_f16 v122, v65, s1, v70
	v_add_f16_e32 v65, v49, v3
	v_sub_f16_e32 v3, v49, v3
	v_mul_f16_e32 v49, 0x3aee, v117
	v_fma_f16 v49, v116, 0.5, v49
	v_add_f16_e32 v70, v4, v49
	v_sub_f16_e32 v49, v4, v49
	v_mul_f16_e32 v4, -0.5, v121
	v_fma_f16 v4, v122, s1, v4
	v_add_f16_e32 v90, v71, v73
	v_sub_f16_e32 v99, v71, v73
	v_add_f16_e32 v71, v2, v4
	v_sub_f16_e32 v2, v2, v4
	v_add_f16_e32 v4, v102, v114
	v_fma_f16 v4, v4, -0.5, v48
	v_sub_f16_e32 v73, v103, v13
	v_add_f16_e32 v75, v72, v56
	v_sub_f16_e32 v56, v72, v56
	v_add_f16_e32 v72, v66, v74
	v_sub_f16_e32 v66, v66, v74
	v_fma_f16 v74, v73, s1, v4
	v_fma_f16 v4, v73, s0, v4
	v_add_f16_e32 v73, v11, v69
	v_fma_f16 v73, v73, -0.5, v84
	v_sub_f16_e32 v76, v12, v58
	v_fma_f16 v123, v76, s1, v73
	v_fma_f16 v124, v76, s0, v73
	v_add_f16_e32 v73, v84, v11
	v_add_f16_e32 v73, v73, v69
	v_sub_f16_e32 v11, v11, v69
	v_add_f16_e32 v69, v12, v58
	v_fma_f16 v69, v69, -0.5, v10
	v_fma_f16 v125, v11, s0, v69
	v_fma_f16 v126, v11, s1, v69
	v_add_f16_e32 v11, v48, v102
	v_mul_f16_e32 v69, 0x3aee, v125
	v_add_f16_e32 v11, v11, v114
	v_fma_f16 v69, v123, 0.5, v69
	v_add_f16_e32 v48, v11, v73
	v_sub_f16_e32 v11, v11, v73
	v_add_f16_e32 v73, v74, v69
	v_sub_f16_e32 v69, v74, v69
	v_mul_f16_e32 v74, -0.5, v124
	v_fma_f16 v74, v126, s1, v74
	v_add_f16_e32 v76, v4, v74
	v_sub_f16_e32 v74, v4, v74
	v_add_f16_e32 v4, v119, v120
	v_fma_f16 v4, v4, -0.5, v47
	v_sub_f16_e32 v77, v112, v104
	v_fma_f16 v78, v77, s1, v4
	v_fma_f16 v4, v77, s0, v4
	v_add_f16_e32 v77, v62, v68
	v_fma_f16 v77, v77, -0.5, v79
	v_sub_f16_e32 v80, v106, v105
	v_fma_f16 v127, v80, s1, v77
	v_fma_f16 v128, v80, s0, v77
	v_add_f16_e32 v77, v79, v62
	v_add_f16_e32 v77, v77, v68
	v_sub_f16_e32 v62, v62, v68
	v_add_f16_e32 v68, v106, v105
	v_fma_f16 v68, v68, -0.5, v109
	v_fma_f16 v129, v62, s0, v68
	v_fma_f16 v130, v62, s1, v68
	v_add_f16_e32 v47, v47, v119
	v_mul_f16_e32 v68, 0x3aee, v129
	v_add_f16_e32 v47, v47, v120
	v_fma_f16 v68, v127, 0.5, v68
	v_add_f16_e32 v62, v47, v77
	v_sub_f16_e32 v47, v47, v77
	v_add_f16_e32 v77, v78, v68
	v_sub_f16_e32 v68, v78, v68
	v_mul_f16_e32 v78, -0.5, v128
	v_fma_f16 v78, v130, s1, v78
	v_add_f16_e32 v79, v4, v78
	v_sub_f16_e32 v78, v4, v78
	v_add_f16_e32 v4, v115, v107
	v_fma_f16 v4, v4, -0.5, v25
	v_sub_f16_e32 v80, v92, v94
	v_fma_f16 v81, v80, s1, v4
	v_fma_f16 v4, v80, s0, v4
	v_add_f16_e32 v80, v64, v67
	v_fma_f16 v80, v80, -0.5, v63
	v_add_f16_e32 v63, v63, v64
	v_add_f16_e32 v63, v63, v67
	v_sub_f16_e32 v64, v64, v67
	v_add_f16_e32 v67, v93, v108
	v_sub_f16_e32 v82, v93, v108
	v_fma_f16 v67, v67, -0.5, v91
	v_add_f16_e32 v25, v25, v115
	v_fma_f16 v132, v82, s0, v80
	v_fma_f16 v133, v64, s0, v67
	v_add_f16_e32 v25, v25, v107
	v_fma_f16 v131, v82, s1, v80
	v_fma_f16 v134, v64, s1, v67
	v_add_f16_e32 v64, v25, v63
	v_sub_f16_e32 v25, v25, v63
	v_mul_f16_e32 v63, 0x3aee, v133
	v_mul_f16_e32 v80, -0.5, v132
	v_fma_f16 v63, v131, 0.5, v63
	v_fma_f16 v80, v134, s1, v80
	v_add_f16_e32 v67, v81, v63
	v_sub_f16_e32 v63, v81, v63
	v_add_f16_e32 v81, v4, v80
	v_sub_f16_e32 v80, v4, v80
	v_mov_b32_e32 v4, 1
	v_lshlrev_b32_sdwa v51, v4, v51 dst_sel:DWORD dst_unused:UNUSED_PAD src0_sel:DWORD src1_sel:BYTE_0
	v_add3_u32 v135, 0, v50, v51
	ds_write_b16 v135, v60
	ds_write_b16 v135, v75 offset:20
	ds_write_b16 v135, v72 offset:40
	;; [unrolled: 1-line block ×5, first 2 shown]
	v_mul_u32_u24_e32 v5, 0x78, v52
	v_lshlrev_b32_sdwa v50, v4, v53 dst_sel:DWORD dst_unused:UNUSED_PAD src0_sel:DWORD src1_sel:BYTE_0
	v_add3_u32 v5, 0, v5, v50
	ds_write_b16 v5, v65
	ds_write_b16 v5, v70 offset:20
	ds_write_b16 v5, v71 offset:40
	;; [unrolled: 1-line block ×5, first 2 shown]
	v_mul_u32_u24_e32 v2, 0x78, v54
	v_lshlrev_b32_e32 v3, 1, v55
	v_add3_u32 v55, 0, v2, v3
	v_mul_u32_u24_e32 v2, 0x78, v100
	v_lshlrev_b32_e32 v3, 1, v101
	v_add3_u32 v56, 0, v2, v3
	;; [unrolled: 3-line block ×3, first 2 shown]
	ds_write_b16 v55, v48
	ds_write_b16 v55, v73 offset:20
	ds_write_b16 v55, v76 offset:40
	ds_write_b16 v55, v11 offset:60
	ds_write_b16 v55, v69 offset:80
	ds_write_b16 v55, v74 offset:100
	ds_write_b16 v56, v62
	ds_write_b16 v56, v77 offset:20
	ds_write_b16 v56, v79 offset:40
	ds_write_b16 v56, v47 offset:60
	ds_write_b16 v56, v68 offset:80
	ds_write_b16 v56, v78 offset:100
	;; [unrolled: 6-line block ×3, first 2 shown]
	v_add_f16_e32 v25, v98, v7
	v_add_f16_e32 v7, v7, v9
	v_lshl_add_u32 v47, v31, 1, 0
	v_lshl_add_u32 v51, v23, 1, 0
	v_add_f16_e32 v25, v25, v9
	v_fma_f16 v7, v7, -0.5, v98
	v_sub_f16_e32 v9, v118, v89
	v_add_f16_e32 v6, v6, v8
	s_waitcnt lgkmcnt(0)
	s_barrier
	ds_read_u16 v64, v43
	ds_read_u16 v70, v42
	ds_read_u16 v85, v42 offset:3840
	ds_read_u16 v83, v42 offset:4096
	;; [unrolled: 1-line block ×7, first 2 shown]
	v_lshl_add_u32 v48, v16, 1, 0
	v_lshl_add_u32 v49, v22, 1, 0
	;; [unrolled: 1-line block ×3, first 2 shown]
	ds_read_u16 v67, v47
	ds_read_u16 v66, v48
	;; [unrolled: 1-line block ×7, first 2 shown]
	v_lshl_add_u32 v52, v20, 1, 0
	v_lshl_add_u32 v53, v24, 1, 0
	ds_read_u16 v62, v51
	ds_read_u16 v11, v52
	;; [unrolled: 1-line block ×3, first 2 shown]
	v_lshl_add_u32 v54, v30, 1, 0
	ds_read_u16 v71, v18
	ds_read_u16 v72, v21
	;; [unrolled: 1-line block ×3, first 2 shown]
	ds_read_u16 v87, v42 offset:5632
	ds_read_u16 v86, v42 offset:5888
	;; [unrolled: 1-line block ×8, first 2 shown]
	s_waitcnt lgkmcnt(0)
	s_barrier
	ds_write_b16 v135, v90
	ds_write_b16 v135, v110 offset:20
	ds_write_b16 v135, v111 offset:40
	;; [unrolled: 1-line block ×5, first 2 shown]
	v_fma_f16 v61, v9, s0, v7
	v_fma_f16 v7, v9, s1, v7
	v_add_f16_e32 v6, v6, v57
	v_mul_f16_e32 v8, 0xbaee, v116
	v_mul_f16_e32 v9, -0.5, v122
	v_fma_f16 v8, v117, 0.5, v8
	v_fma_f16 v9, v121, s0, v9
	v_add_f16_e32 v57, v25, v6
	v_sub_f16_e32 v6, v25, v6
	v_add_f16_e32 v25, v61, v8
	v_sub_f16_e32 v8, v61, v8
	;; [unrolled: 2-line block ×3, first 2 shown]
	ds_write_b16 v5, v57
	ds_write_b16 v5, v25 offset:20
	ds_write_b16 v5, v61 offset:40
	;; [unrolled: 1-line block ×5, first 2 shown]
	v_add_f16_e32 v6, v103, v13
	v_fma_f16 v6, v6, -0.5, v97
	v_sub_f16_e32 v7, v102, v114
	v_add_f16_e32 v5, v97, v103
	v_fma_f16 v8, v7, s0, v6
	v_fma_f16 v6, v7, s1, v6
	v_add_f16_e32 v7, v10, v12
	v_mul_f16_e32 v9, 0xbaee, v123
	v_mul_f16_e32 v10, -0.5, v126
	v_add_f16_e32 v5, v5, v13
	v_add_f16_e32 v7, v7, v58
	v_fma_f16 v9, v125, 0.5, v9
	v_fma_f16 v10, v124, s0, v10
	v_add_f16_e32 v12, v5, v7
	v_sub_f16_e32 v5, v5, v7
	v_add_f16_e32 v7, v8, v9
	v_sub_f16_e32 v8, v8, v9
	;; [unrolled: 2-line block ×3, first 2 shown]
	ds_write_b16 v55, v12
	ds_write_b16 v55, v7 offset:20
	ds_write_b16 v55, v9 offset:40
	;; [unrolled: 1-line block ×5, first 2 shown]
	v_add_f16_e32 v6, v112, v104
	v_fma_f16 v6, v6, -0.5, v95
	v_sub_f16_e32 v7, v119, v120
	v_add_f16_e32 v5, v95, v112
	v_fma_f16 v8, v7, s0, v6
	v_fma_f16 v6, v7, s1, v6
	v_add_f16_e32 v7, v109, v106
	v_mul_f16_e32 v9, 0xbaee, v127
	v_mul_f16_e32 v10, -0.5, v130
	v_add_f16_e32 v5, v5, v104
	v_add_f16_e32 v7, v7, v105
	v_fma_f16 v9, v129, 0.5, v9
	v_fma_f16 v10, v128, s0, v10
	v_add_f16_e32 v12, v5, v7
	v_sub_f16_e32 v5, v5, v7
	v_add_f16_e32 v7, v8, v9
	v_sub_f16_e32 v8, v8, v9
	;; [unrolled: 2-line block ×3, first 2 shown]
	ds_write_b16 v56, v12
	ds_write_b16 v56, v7 offset:20
	ds_write_b16 v56, v9 offset:40
	;; [unrolled: 1-line block ×5, first 2 shown]
	v_add_f16_e32 v6, v92, v94
	v_fma_f16 v6, v6, -0.5, v96
	v_sub_f16_e32 v7, v115, v107
	v_add_f16_e32 v5, v96, v92
	v_fma_f16 v8, v7, s0, v6
	v_fma_f16 v6, v7, s1, v6
	v_add_f16_e32 v7, v91, v93
	v_add_f16_e32 v5, v5, v94
	;; [unrolled: 1-line block ×3, first 2 shown]
	v_mul_f16_e32 v9, 0xbaee, v131
	v_mul_f16_e32 v10, -0.5, v134
	v_fma_f16 v9, v133, 0.5, v9
	v_fma_f16 v10, v132, s0, v10
	v_add_f16_e32 v12, v5, v7
	v_sub_f16_e32 v5, v5, v7
	v_add_f16_e32 v7, v8, v9
	v_sub_f16_e32 v8, v8, v9
	;; [unrolled: 2-line block ×3, first 2 shown]
	ds_write_b16 v60, v12
	ds_write_b16 v60, v7 offset:20
	ds_write_b16 v60, v9 offset:40
	;; [unrolled: 1-line block ×5, first 2 shown]
	s_movk_i32 s0, 0x89
	v_mul_lo_u16_e32 v5, 0x89, v0
	v_lshrrev_b16_e32 v88, 13, v5
	v_mul_lo_u16_sdwa v10, v26, s0 dst_sel:DWORD dst_unused:UNUSED_PAD src0_sel:BYTE_0 src1_sel:DWORD
	v_mul_lo_u16_e32 v5, 60, v88
	v_lshrrev_b16_e32 v90, 13, v10
	v_sub_u16_e32 v89, v0, v5
	v_mul_lo_u16_e32 v5, 60, v90
	s_mov_b32 s0, 0x8889
	v_sub_u16_e32 v91, v26, v5
	v_mul_u32_u24_sdwa v5, v28, s0 dst_sel:DWORD dst_unused:UNUSED_PAD src0_sel:WORD_0 src1_sel:DWORD
	v_lshrrev_b32_e32 v92, 21, v5
	v_mul_lo_u16_e32 v6, 60, v92
	v_sub_u16_e32 v93, v28, v6
	v_mul_u32_u24_sdwa v6, v37, s0 dst_sel:DWORD dst_unused:UNUSED_PAD src0_sel:WORD_0 src1_sel:DWORD
	v_lshrrev_b32_e32 v94, 21, v6
	v_mul_lo_u16_e32 v7, 60, v94
	;; [unrolled: 4-line block ×3, first 2 shown]
	v_mov_b32_e32 v61, 2
	v_sub_u16_e32 v97, v35, v8
	v_mul_u32_u24_sdwa v8, v33, s0 dst_sel:DWORD dst_unused:UNUSED_PAD src0_sel:WORD_0 src1_sel:DWORD
	v_lshlrev_b32_sdwa v9, v61, v89 dst_sel:DWORD dst_unused:UNUSED_PAD src0_sel:DWORD src1_sel:BYTE_0
	v_lshlrev_b32_sdwa v12, v61, v91 dst_sel:DWORD dst_unused:UNUSED_PAD src0_sel:DWORD src1_sel:BYTE_0
	v_lshlrev_b32_e32 v13, 2, v93
	v_lshlrev_b32_e32 v25, 2, v95
	v_lshrrev_b32_e32 v99, 21, v8
	v_lshlrev_b32_e32 v55, 2, v97
	s_waitcnt lgkmcnt(0)
	s_barrier
	global_load_dword v98, v9, s[8:9] offset:200
	global_load_dword v101, v12, s[8:9] offset:200
	;; [unrolled: 1-line block ×5, first 2 shown]
	v_mul_lo_u16_e32 v9, 60, v99
	v_sub_u16_e32 v100, v33, v9
	v_mul_u32_u24_sdwa v9, v31, s0 dst_sel:DWORD dst_unused:UNUSED_PAD src0_sel:WORD_0 src1_sel:DWORD
	v_lshrrev_b32_e32 v103, 21, v9
	v_mul_lo_u16_e32 v12, 60, v103
	v_sub_u16_e32 v104, v31, v12
	v_mul_u32_u24_sdwa v12, v16, s0 dst_sel:DWORD dst_unused:UNUSED_PAD src0_sel:WORD_0 src1_sel:DWORD
	v_lshrrev_b32_e32 v106, 21, v12
	v_mul_lo_u16_e32 v25, 60, v106
	v_sub_u16_e32 v108, v16, v25
	v_lshlrev_b32_e32 v56, 2, v100
	v_lshlrev_b32_e32 v25, 2, v108
	v_lshlrev_b32_e32 v13, 2, v104
	global_load_dword v109, v56, s[8:9] offset:200
	global_load_dword v110, v13, s[8:9] offset:200
	;; [unrolled: 1-line block ×3, first 2 shown]
	v_mul_u32_u24_sdwa v25, v22, s0 dst_sel:DWORD dst_unused:UNUSED_PAD src0_sel:WORD_0 src1_sel:DWORD
	v_lshrrev_b32_e32 v112, 21, v25
	v_mul_u32_u24_sdwa v55, v17, s0 dst_sel:DWORD dst_unused:UNUSED_PAD src0_sel:WORD_0 src1_sel:DWORD
	v_mul_lo_u16_e32 v13, 60, v112
	v_lshrrev_b32_e32 v114, 21, v55
	v_sub_u16_e32 v113, v22, v13
	v_mul_lo_u16_e32 v13, 60, v114
	v_mul_u32_u24_sdwa v57, v19, s0 dst_sel:DWORD dst_unused:UNUSED_PAD src0_sel:WORD_0 src1_sel:DWORD
	v_sub_u16_e32 v115, v17, v13
	v_lshrrev_b32_e32 v116, 21, v57
	v_lshlrev_b32_e32 v56, 2, v113
	v_lshlrev_b32_e32 v58, 2, v115
	v_mul_lo_u16_e32 v13, 60, v116
	v_sub_u16_e32 v117, v19, v13
	v_mul_u32_u24_sdwa v13, v23, s0 dst_sel:DWORD dst_unused:UNUSED_PAD src0_sel:WORD_0 src1_sel:DWORD
	global_load_dword v119, v56, s[8:9] offset:200
	global_load_dword v121, v58, s[8:9] offset:200
	v_mul_u32_u24_sdwa v58, v20, s0 dst_sel:DWORD dst_unused:UNUSED_PAD src0_sel:WORD_0 src1_sel:DWORD
	v_lshrrev_b32_e32 v118, 21, v13
	v_lshrrev_b32_e32 v122, 21, v58
	v_mul_lo_u16_e32 v56, 60, v118
	v_mul_lo_u16_e32 v123, 60, v122
	v_sub_u16_e32 v120, v23, v56
	v_sub_u16_e32 v123, v20, v123
	v_lshlrev_b32_e32 v60, 2, v117
	v_lshlrev_b32_e32 v56, 2, v120
	;; [unrolled: 1-line block ×3, first 2 shown]
	global_load_dword v124, v60, s[8:9] offset:200
	v_lshrrev_b16_e32 v10, 14, v10
	global_load_dword v125, v125, s[8:9] offset:200
	v_lshrrev_b32_e32 v5, 22, v5
	global_load_dword v126, v56, s[8:9] offset:200
	v_mul_u32_u24_sdwa v60, v24, s0 dst_sel:DWORD dst_unused:UNUSED_PAD src0_sel:WORD_0 src1_sel:DWORD
	v_lshrrev_b32_e32 v127, 21, v60
	v_mul_lo_u16_e32 v56, 60, v127
	v_sub_u16_e32 v128, v24, v56
	v_mul_u32_u24_sdwa v56, v30, s0 dst_sel:DWORD dst_unused:UNUSED_PAD src0_sel:WORD_0 src1_sel:DWORD
	v_lshrrev_b32_e32 v130, 21, v56
	v_lshlrev_b32_e32 v129, 2, v128
	v_mul_lo_u16_e32 v131, 60, v130
	global_load_dword v129, v129, s[8:9] offset:200
	v_sub_u16_e32 v131, v30, v131
	v_lshlrev_b32_e32 v132, 2, v131
	global_load_dword v132, v132, s[8:9] offset:200
	ds_read_u16 v133, v42 offset:3840
	ds_read_u16 v134, v42 offset:4096
	;; [unrolled: 1-line block ×7, first 2 shown]
	ds_read_u16 v140, v42
	s_movk_i32 s0, 0x78
	v_cmp_gt_u32_e64 s[0:1], s0, v0
	s_waitcnt vmcnt(14) lgkmcnt(7)
	v_mul_f16_sdwa v141, v133, v98 dst_sel:DWORD dst_unused:UNUSED_PAD src0_sel:DWORD src1_sel:WORD_1
	v_fma_f16 v141, v85, v98, -v141
	v_mul_f16_sdwa v85, v85, v98 dst_sel:DWORD dst_unused:UNUSED_PAD src0_sel:DWORD src1_sel:WORD_1
	v_fma_f16 v85, v133, v98, v85
	s_waitcnt vmcnt(13) lgkmcnt(6)
	v_mul_f16_sdwa v98, v134, v101 dst_sel:DWORD dst_unused:UNUSED_PAD src0_sel:DWORD src1_sel:WORD_1
	v_fma_f16 v98, v83, v101, -v98
	v_mul_f16_sdwa v83, v83, v101 dst_sel:DWORD dst_unused:UNUSED_PAD src0_sel:DWORD src1_sel:WORD_1
	v_fma_f16 v101, v134, v101, v83
	;; [unrolled: 5-line block ×7, first 2 shown]
	ds_read_u16 v73, v42 offset:5632
	ds_read_u16 v133, v42 offset:5888
	;; [unrolled: 1-line block ×8, first 2 shown]
	s_waitcnt vmcnt(7) lgkmcnt(7)
	v_mul_f16_sdwa v142, v73, v111 dst_sel:DWORD dst_unused:UNUSED_PAD src0_sel:DWORD src1_sel:WORD_1
	v_fma_f16 v142, v87, v111, -v142
	v_mul_f16_sdwa v87, v87, v111 dst_sel:DWORD dst_unused:UNUSED_PAD src0_sel:DWORD src1_sel:WORD_1
	v_fma_f16 v111, v73, v111, v87
	v_lshlrev_b32_sdwa v87, v4, v89 dst_sel:DWORD dst_unused:UNUSED_PAD src0_sel:DWORD src1_sel:BYTE_0
	s_waitcnt vmcnt(6) lgkmcnt(6)
	v_mul_f16_sdwa v73, v133, v119 dst_sel:DWORD dst_unused:UNUSED_PAD src0_sel:DWORD src1_sel:WORD_1
	v_fma_f16 v73, v86, v119, -v73
	v_mul_f16_sdwa v86, v86, v119 dst_sel:DWORD dst_unused:UNUSED_PAD src0_sel:DWORD src1_sel:WORD_1
	v_fma_f16 v119, v133, v119, v86
	s_waitcnt vmcnt(5) lgkmcnt(5)
	v_mul_f16_sdwa v86, v134, v121 dst_sel:DWORD dst_unused:UNUSED_PAD src0_sel:DWORD src1_sel:WORD_1
	v_fma_f16 v86, v84, v121, -v86
	v_mul_f16_sdwa v84, v84, v121 dst_sel:DWORD dst_unused:UNUSED_PAD src0_sel:DWORD src1_sel:WORD_1
	v_fma_f16 v121, v134, v121, v84
	s_waitcnt vmcnt(4) lgkmcnt(4)
	v_mul_f16_sdwa v84, v135, v124 dst_sel:DWORD dst_unused:UNUSED_PAD src0_sel:DWORD src1_sel:WORD_1
	v_fma_f16 v84, v82, v124, -v84
	v_mul_f16_sdwa v82, v82, v124 dst_sel:DWORD dst_unused:UNUSED_PAD src0_sel:DWORD src1_sel:WORD_1
	v_fma_f16 v124, v135, v124, v82
	s_waitcnt vmcnt(2) lgkmcnt(3)
	v_mul_f16_sdwa v82, v136, v126 dst_sel:DWORD dst_unused:UNUSED_PAD src0_sel:DWORD src1_sel:WORD_1
	v_fma_f16 v82, v80, v126, -v82
	v_mul_f16_sdwa v80, v80, v126 dst_sel:DWORD dst_unused:UNUSED_PAD src0_sel:DWORD src1_sel:WORD_1
	v_fma_f16 v126, v136, v126, v80
	s_waitcnt lgkmcnt(2)
	v_mul_f16_sdwa v80, v137, v125 dst_sel:DWORD dst_unused:UNUSED_PAD src0_sel:DWORD src1_sel:WORD_1
	v_fma_f16 v80, v78, v125, -v80
	v_mul_f16_sdwa v78, v78, v125 dst_sel:DWORD dst_unused:UNUSED_PAD src0_sel:DWORD src1_sel:WORD_1
	v_fma_f16 v125, v137, v125, v78
	s_waitcnt vmcnt(1) lgkmcnt(1)
	v_mul_f16_sdwa v78, v138, v129 dst_sel:DWORD dst_unused:UNUSED_PAD src0_sel:DWORD src1_sel:WORD_1
	v_fma_f16 v78, v76, v129, -v78
	v_mul_f16_sdwa v76, v76, v129 dst_sel:DWORD dst_unused:UNUSED_PAD src0_sel:DWORD src1_sel:WORD_1
	v_fma_f16 v129, v138, v129, v76
	s_waitcnt vmcnt(0) lgkmcnt(0)
	v_mul_f16_sdwa v76, v139, v132 dst_sel:DWORD dst_unused:UNUSED_PAD src0_sel:DWORD src1_sel:WORD_1
	v_fma_f16 v76, v74, v132, -v76
	v_mul_f16_sdwa v74, v74, v132 dst_sel:DWORD dst_unused:UNUSED_PAD src0_sel:DWORD src1_sel:WORD_1
	v_fma_f16 v132, v139, v132, v74
	v_mul_u32_u24_e32 v74, 0xf0, v88
	v_add3_u32 v89, 0, v74, v87
	v_sub_f16_e32 v74, v70, v141
	v_fma_f16 v70, v70, 2.0, -v74
	ds_read_u16 v133, v43
	ds_read_u16 v134, v47
	;; [unrolled: 1-line block ×14, first 2 shown]
	s_waitcnt lgkmcnt(0)
	s_barrier
	ds_write_b16 v89, v70
	ds_write_b16 v89, v74 offset:120
	v_mul_u32_u24_e32 v70, 0xf0, v90
	v_lshlrev_b32_sdwa v74, v4, v91 dst_sel:DWORD dst_unused:UNUSED_PAD src0_sel:DWORD src1_sel:BYTE_0
	v_add3_u32 v90, 0, v70, v74
	v_sub_f16_e32 v70, v72, v98
	v_fma_f16 v72, v72, 2.0, -v70
	ds_write_b16 v90, v72
	ds_write_b16 v90, v70 offset:120
	v_mul_u32_u24_e32 v70, 0xf0, v92
	v_lshlrev_b32_e32 v72, 1, v93
	v_add3_u32 v91, 0, v70, v72
	v_sub_f16_e32 v70, v71, v83
	v_fma_f16 v71, v71, 2.0, -v70
	ds_write_b16 v91, v71
	ds_write_b16 v91, v70 offset:120
	v_mul_u32_u24_e32 v70, 0xf0, v94
	v_lshlrev_b32_e32 v71, 1, v95
	;; [unrolled: 7-line block ×13, first 2 shown]
	v_add3_u32 v3, 0, v3, v11
	v_sub_f16_e32 v11, v2, v76
	v_fma_f16 v2, v2, 2.0, -v11
	ds_write_b16 v3, v2
	ds_write_b16 v3, v11 offset:120
	v_sub_f16_e32 v2, v140, v85
	v_fma_f16 v104, v140, 2.0, -v2
	s_waitcnt lgkmcnt(0)
	s_barrier
	ds_read_u16 v69, v43
	ds_read_u16 v74, v42
	ds_read_u16 v106, v42 offset:3840
	ds_read_u16 v108, v42 offset:4096
	;; [unrolled: 1-line block ×7, first 2 shown]
	ds_read_u16 v70, v47
	ds_read_u16 v68, v48
	;; [unrolled: 1-line block ×13, first 2 shown]
	ds_read_u16 v87, v42 offset:5632
	ds_read_u16 v85, v42 offset:5888
	ds_read_u16 v83, v42 offset:6144
	ds_read_u16 v81, v42 offset:6400
	ds_read_u16 v79, v42 offset:6656
	ds_read_u16 v78, v42 offset:6912
	ds_read_u16 v77, v42 offset:7168
	ds_read_u16 v76, v42 offset:7424
	s_waitcnt lgkmcnt(0)
	s_barrier
	ds_write_b16 v89, v104
	ds_write_b16 v89, v2 offset:120
	v_sub_f16_e32 v2, v147, v101
	v_fma_f16 v89, v147, 2.0, -v2
	ds_write_b16 v90, v89
	ds_write_b16 v90, v2 offset:120
	v_sub_f16_e32 v2, v146, v102
	v_fma_f16 v89, v146, 2.0, -v2
	;; [unrolled: 4-line block ×14, first 2 shown]
	ds_write_b16 v3, v59
	ds_write_b16 v3, v2 offset:120
	v_add_u32_e32 v2, 0xffffff88, v0
	v_cndmask_b32_e64 v2, v2, v0, s[0:1]
	v_mov_b32_e32 v3, 0
	v_lshlrev_b64 v[89:90], 2, v[2:3]
	v_mov_b32_e32 v59, s9
	v_add_co_u32_e64 v89, s[0:1], s8, v89
	v_lshrrev_b32_e32 v113, 22, v55
	v_lshrrev_b32_e32 v116, 22, v57
	;; [unrolled: 1-line block ×6, first 2 shown]
	v_addc_co_u32_e64 v90, s[0:1], v59, v90, s[0:1]
	v_mul_lo_u16_e32 v91, 0x78, v10
	v_mul_lo_u16_e32 v114, 0x78, v113
	;; [unrolled: 1-line block ×7, first 2 shown]
	s_waitcnt lgkmcnt(0)
	s_barrier
	v_sub_u16_e32 v91, v26, v91
	global_load_dword v89, v[89:90], off offset:440
	v_sub_u16_e32 v114, v17, v114
	v_sub_u16_e32 v117, v19, v117
	;; [unrolled: 1-line block ×6, first 2 shown]
	v_lshlrev_b32_sdwa v61, v61, v91 dst_sel:DWORD dst_unused:UNUSED_PAD src0_sel:DWORD src1_sel:BYTE_0
	v_mul_lo_u16_e32 v92, 0x78, v5
	v_lshlrev_b32_e32 v115, 2, v114
	v_lshlrev_b32_e32 v118, 2, v117
	v_lshlrev_b32_e32 v121, 2, v120
	v_lshlrev_b32_e32 v124, 2, v123
	v_lshlrev_b32_e32 v127, 2, v126
	v_lshlrev_b32_e32 v130, 2, v129
	global_load_dword v130, v130, s[8:9] offset:440
	v_sub_u16_e32 v90, v28, v92
	v_lshrrev_b32_e32 v93, 22, v6
	global_load_dword v61, v61, s[8:9] offset:440
	v_lshlrev_b32_e32 v92, 2, v90
	global_load_dword v92, v92, s[8:9] offset:440
	v_mul_lo_u16_e32 v94, 0x78, v93
	global_load_dword v115, v115, s[8:9] offset:440
	v_sub_u16_e32 v94, v37, v94
	global_load_dword v118, v118, s[8:9] offset:440
	v_lshrrev_b32_e32 v96, 22, v7
	global_load_dword v121, v121, s[8:9] offset:440
	v_lshlrev_b32_e32 v95, 2, v94
	global_load_dword v124, v124, s[8:9] offset:440
	v_mul_lo_u16_e32 v97, 0x78, v96
	global_load_dword v127, v127, s[8:9] offset:440
	v_sub_u16_e32 v97, v35, v97
	global_load_dword v95, v95, s[8:9] offset:440
	v_lshrrev_b32_e32 v99, 22, v8
	v_lshlrev_b32_e32 v98, 2, v97
	global_load_dword v98, v98, s[8:9] offset:440
	v_mul_lo_u16_e32 v100, 0x78, v99
	v_sub_u16_e32 v100, v33, v100
	v_lshrrev_b32_e32 v102, 22, v9
	v_lshlrev_b32_e32 v101, 2, v100
	global_load_dword v101, v101, s[8:9] offset:440
	v_mul_lo_u16_e32 v103, 0x78, v102
	v_sub_u16_e32 v103, v31, v103
	;; [unrolled: 5-line block ×4, first 2 shown]
	v_lshlrev_b32_e32 v112, 2, v111
	global_load_dword v112, v112, s[8:9] offset:440
	ds_read_u16 v131, v42 offset:3840
	ds_read_u16 v132, v42 offset:4096
	;; [unrolled: 1-line block ×7, first 2 shown]
	ds_read_u16 v138, v42
	s_movk_i32 s0, 0x77
	v_cmp_lt_u32_e64 s[0:1], s0, v0
	v_lshlrev_b32_e32 v2, 1, v2
	v_lshlrev_b32_sdwa v4, v4, v91 dst_sel:DWORD dst_unused:UNUSED_PAD src0_sel:DWORD src1_sel:BYTE_0
	v_mul_u32_u24_e32 v10, 0x1e0, v10
	v_add3_u32 v4, 0, v10, v4
	v_mul_u32_u24_e32 v5, 0x1e0, v5
	v_lshrrev_b32_e32 v7, 23, v7
	v_mul_lo_u16_e32 v7, 0xf0, v7
	v_lshrrev_b32_e32 v8, 23, v8
	s_waitcnt vmcnt(14) lgkmcnt(7)
	v_mul_f16_sdwa v139, v131, v89 dst_sel:DWORD dst_unused:UNUSED_PAD src0_sel:DWORD src1_sel:WORD_1
	v_fma_f16 v139, v106, v89, -v139
	v_mul_f16_sdwa v106, v106, v89 dst_sel:DWORD dst_unused:UNUSED_PAD src0_sel:DWORD src1_sel:WORD_1
	v_fma_f16 v89, v131, v89, v106
	s_waitcnt vmcnt(12) lgkmcnt(6)
	v_mul_f16_sdwa v106, v132, v61 dst_sel:DWORD dst_unused:UNUSED_PAD src0_sel:DWORD src1_sel:WORD_1
	v_fma_f16 v106, v108, v61, -v106
	v_mul_f16_sdwa v108, v108, v61 dst_sel:DWORD dst_unused:UNUSED_PAD src0_sel:DWORD src1_sel:WORD_1
	v_fma_f16 v108, v132, v61, v108
	;; [unrolled: 5-line block ×3, first 2 shown]
	v_sub_f16_e32 v10, v75, v106
	s_waitcnt vmcnt(5) lgkmcnt(4)
	v_mul_f16_sdwa v88, v134, v95 dst_sel:DWORD dst_unused:UNUSED_PAD src0_sel:DWORD src1_sel:WORD_1
	v_fma_f16 v88, v86, v95, -v88
	v_mul_f16_sdwa v86, v86, v95 dst_sel:DWORD dst_unused:UNUSED_PAD src0_sel:DWORD src1_sel:WORD_1
	v_fma_f16 v95, v134, v95, v86
	s_waitcnt vmcnt(4) lgkmcnt(3)
	v_mul_f16_sdwa v86, v135, v98 dst_sel:DWORD dst_unused:UNUSED_PAD src0_sel:DWORD src1_sel:WORD_1
	v_fma_f16 v86, v84, v98, -v86
	v_mul_f16_sdwa v84, v84, v98 dst_sel:DWORD dst_unused:UNUSED_PAD src0_sel:DWORD src1_sel:WORD_1
	v_fma_f16 v98, v135, v98, v84
	;; [unrolled: 5-line block ×4, first 2 shown]
	ds_read_u16 v80, v42 offset:5632
	ds_read_u16 v131, v42 offset:5888
	;; [unrolled: 1-line block ×8, first 2 shown]
	s_waitcnt vmcnt(1) lgkmcnt(7)
	v_mul_f16_sdwa v140, v80, v109 dst_sel:DWORD dst_unused:UNUSED_PAD src0_sel:DWORD src1_sel:WORD_1
	v_fma_f16 v140, v87, v109, -v140
	v_mul_f16_sdwa v87, v87, v109 dst_sel:DWORD dst_unused:UNUSED_PAD src0_sel:DWORD src1_sel:WORD_1
	v_fma_f16 v109, v80, v109, v87
	s_waitcnt vmcnt(0) lgkmcnt(6)
	v_mul_f16_sdwa v80, v131, v112 dst_sel:DWORD dst_unused:UNUSED_PAD src0_sel:DWORD src1_sel:WORD_1
	v_fma_f16 v80, v85, v112, -v80
	v_mul_f16_sdwa v85, v85, v112 dst_sel:DWORD dst_unused:UNUSED_PAD src0_sel:DWORD src1_sel:WORD_1
	v_fma_f16 v112, v131, v112, v85
	s_waitcnt lgkmcnt(5)
	v_mul_f16_sdwa v85, v132, v115 dst_sel:DWORD dst_unused:UNUSED_PAD src0_sel:DWORD src1_sel:WORD_1
	v_fma_f16 v85, v83, v115, -v85
	v_mul_f16_sdwa v83, v83, v115 dst_sel:DWORD dst_unused:UNUSED_PAD src0_sel:DWORD src1_sel:WORD_1
	v_fma_f16 v115, v132, v115, v83
	s_waitcnt lgkmcnt(4)
	;; [unrolled: 5-line block ×6, first 2 shown]
	v_mul_f16_sdwa v77, v137, v130 dst_sel:DWORD dst_unused:UNUSED_PAD src0_sel:DWORD src1_sel:WORD_1
	v_fma_f16 v77, v76, v130, -v77
	v_mul_f16_sdwa v76, v76, v130 dst_sel:DWORD dst_unused:UNUSED_PAD src0_sel:DWORD src1_sel:WORD_1
	v_fma_f16 v130, v137, v130, v76
	v_mov_b32_e32 v76, 0x1e0
	v_cndmask_b32_e64 v76, 0, v76, s[0:1]
	v_add3_u32 v2, 0, v76, v2
	v_sub_f16_e32 v76, v74, v139
	v_fma_f16 v74, v74, 2.0, -v76
	ds_read_u16 v131, v43
	ds_read_u16 v132, v47
	;; [unrolled: 1-line block ×14, first 2 shown]
	s_waitcnt lgkmcnt(0)
	s_barrier
	ds_write_b16 v2, v74
	ds_write_b16 v2, v76 offset:240
	v_fma_f16 v74, v75, 2.0, -v10
	ds_write_b16 v4, v74
	ds_write_b16 v4, v10 offset:240
	v_lshlrev_b32_e32 v10, 1, v90
	v_add3_u32 v5, 0, v5, v10
	v_sub_f16_e32 v10, v73, v61
	v_fma_f16 v61, v73, 2.0, -v10
	ds_write_b16 v5, v61
	ds_write_b16 v5, v10 offset:240
	v_mul_u32_u24_e32 v10, 0x1e0, v93
	v_lshlrev_b32_e32 v61, 1, v94
	v_add3_u32 v10, 0, v10, v61
	v_sub_f16_e32 v61, v72, v88
	v_fma_f16 v72, v72, 2.0, -v61
	ds_write_b16 v10, v72
	ds_write_b16 v10, v61 offset:240
	v_mul_u32_u24_e32 v61, 0x1e0, v96
	;; [unrolled: 7-line block ×12, first 2 shown]
	v_lshlrev_b32_e32 v62, 1, v129
	v_add3_u32 v106, 0, v61, v62
	v_sub_f16_e32 v61, v11, v77
	v_fma_f16 v11, v11, 2.0, -v61
	ds_write_b16 v106, v11
	ds_write_b16 v106, v61 offset:240
	v_sub_f16_e32 v11, v138, v89
	v_fma_f16 v107, v138, 2.0, -v11
	s_waitcnt lgkmcnt(0)
	s_barrier
	ds_read_u16 v68, v43
	ds_read_u16 v75, v42
	ds_read_u16 v90, v42 offset:3840
	ds_read_u16 v89, v42 offset:4096
	;; [unrolled: 1-line block ×7, first 2 shown]
	ds_read_u16 v70, v47
	ds_read_u16 v69, v48
	;; [unrolled: 1-line block ×13, first 2 shown]
	ds_read_u16 v87, v42 offset:5632
	ds_read_u16 v85, v42 offset:5888
	;; [unrolled: 1-line block ×8, first 2 shown]
	s_waitcnt lgkmcnt(0)
	s_barrier
	ds_write_b16 v2, v107
	ds_write_b16 v2, v11 offset:240
	v_sub_f16_e32 v2, v145, v108
	v_fma_f16 v11, v145, 2.0, -v2
	ds_write_b16 v4, v11
	ds_write_b16 v4, v2 offset:240
	v_sub_f16_e32 v2, v144, v92
	v_fma_f16 v4, v144, 2.0, -v2
	;; [unrolled: 4-line block ×14, first 2 shown]
	ds_write_b16 v106, v4
	ds_write_b16 v106, v2 offset:240
	v_lshlrev_b64 v[4:5], 2, v[0:1]
	v_add_u32_e32 v2, 0xffffff90, v0
	v_add_co_u32_e64 v10, s[0:1], s8, v4
	v_addc_co_u32_e64 v11, s[0:1], v59, v5, s[0:1]
	s_movk_i32 s0, 0xf0
	v_cmp_gt_u32_e64 s[0:1], s0, v26
	v_cndmask_b32_e64 v2, v2, v26, s[0:1]
	v_lshlrev_b64 v[91:92], 2, v[2:3]
	s_waitcnt lgkmcnt(0)
	v_add_co_u32_e64 v91, s[0:1], s8, v91
	s_barrier
	global_load_dword v1, v[10:11], off offset:920
	v_addc_co_u32_e64 v92, s[0:1], v59, v92, s[0:1]
	global_load_dword v93, v[10:11], off offset:984
	global_load_dword v94, v[91:92], off offset:920
	v_lshrrev_b32_e32 v91, 23, v6
	v_mul_lo_u16_e32 v6, 0xf0, v91
	v_sub_u16_e32 v92, v37, v6
	v_lshlrev_b32_e32 v6, 2, v92
	v_sub_u16_e32 v95, v35, v7
	v_mul_lo_u16_e32 v7, 0xf0, v8
	global_load_dword v96, v6, s[8:9] offset:920
	v_lshlrev_b32_e32 v6, 2, v95
	v_sub_u16_e32 v98, v33, v7
	global_load_dword v97, v6, s[8:9] offset:920
	v_lshlrev_b32_e32 v6, 2, v98
	v_lshrrev_b32_e32 v7, 23, v9
	global_load_dword v9, v6, s[8:9] offset:920
	v_mul_lo_u16_e32 v6, 0xf0, v7
	v_sub_u16_e32 v99, v31, v6
	v_lshlrev_b32_e32 v6, 2, v99
	v_lshrrev_b32_e32 v101, 23, v12
	global_load_dword v100, v6, s[8:9] offset:920
	v_mul_lo_u16_e32 v6, 0xf0, v101
	v_lshrrev_b32_e32 v7, 23, v25
	v_lshrrev_b32_e32 v104, 23, v55
	v_sub_u16_e32 v102, v16, v6
	v_mul_lo_u16_e32 v7, 0xf0, v7
	v_mul_lo_u16_e32 v105, 0xf0, v104
	v_lshlrev_b32_e32 v6, 2, v102
	v_sub_u16_e32 v103, v22, v7
	v_sub_u16_e32 v105, v17, v105
	v_lshlrev_b32_e32 v7, 2, v103
	global_load_dword v106, v6, s[8:9] offset:920
	v_lshlrev_b32_e32 v6, 2, v105
	global_load_dword v107, v7, s[8:9] offset:920
	global_load_dword v108, v6, s[8:9] offset:920
	v_lshrrev_b32_e32 v6, 23, v57
	v_lshrrev_b32_e32 v110, 23, v13
	v_mul_lo_u16_e32 v6, 0xf0, v6
	v_mul_lo_u16_e32 v7, 0xf0, v110
	v_sub_u16_e32 v109, v19, v6
	v_sub_u16_e32 v111, v23, v7
	v_lshlrev_b32_e32 v6, 2, v109
	v_lshlrev_b32_e32 v7, 2, v111
	global_load_dword v112, v6, s[8:9] offset:920
	global_load_dword v114, v7, s[8:9] offset:920
	v_lshrrev_b32_e32 v6, 23, v58
	v_mul_lo_u16_e32 v6, 0xf0, v6
	v_lshrrev_b32_e32 v115, 23, v60
	v_sub_u16_e32 v113, v20, v6
	v_mul_lo_u16_e32 v7, 0xf0, v115
	v_lshlrev_b32_e32 v6, 2, v113
	v_sub_u16_e32 v117, v24, v7
	global_load_dword v116, v6, s[8:9] offset:920
	v_lshlrev_b32_e32 v6, 2, v117
	v_lshrrev_b32_e32 v7, 23, v56
	global_load_dword v118, v6, s[8:9] offset:920
	v_mul_lo_u16_e32 v6, 0xf0, v7
	v_sub_u16_e32 v119, v30, v6
	v_lshlrev_b32_e32 v6, 2, v119
	global_load_dword v120, v6, s[8:9] offset:920
	v_lshlrev_b64 v[6:7], 2, v[26:27]
	ds_read_u16 v27, v42 offset:3840
	ds_read_u16 v121, v42 offset:4096
	;; [unrolled: 1-line block ×7, first 2 shown]
	ds_read_u16 v127, v42
	v_add_co_u32_e64 v6, s[0:1], s8, v6
	v_addc_co_u32_e64 v7, s[0:1], v59, v7, s[0:1]
	s_movk_i32 s0, 0xef
	v_cmp_lt_u32_e64 s[0:1], s0, v26
	v_lshlrev_b32_e32 v2, 1, v2
	v_mul_u32_u24_e32 v8, 0x3c0, v8
	v_mul_lo_u16_sdwa v25, v25, s4 dst_sel:DWORD dst_unused:UNUSED_PAD src0_sel:BYTE_3 src1_sel:DWORD
	v_sub_u16_e32 v25, v22, v25
	v_mul_lo_u16_sdwa v55, v55, s4 dst_sel:DWORD dst_unused:UNUSED_PAD src0_sel:BYTE_3 src1_sel:DWORD
	v_sub_u16_e32 v55, v17, v55
	;; [unrolled: 2-line block ×5, first 2 shown]
	s_waitcnt vmcnt(14) lgkmcnt(7)
	v_mul_f16_sdwa v128, v27, v1 dst_sel:DWORD dst_unused:UNUSED_PAD src0_sel:DWORD src1_sel:WORD_1
	v_fma_f16 v128, v90, v1, -v128
	v_mul_f16_sdwa v90, v90, v1 dst_sel:DWORD dst_unused:UNUSED_PAD src0_sel:DWORD src1_sel:WORD_1
	v_fma_f16 v1, v27, v1, v90
	s_waitcnt vmcnt(13) lgkmcnt(5)
	v_mul_f16_sdwa v90, v122, v93 dst_sel:DWORD dst_unused:UNUSED_PAD src0_sel:DWORD src1_sel:WORD_1
	v_fma_f16 v90, v88, v93, -v90
	v_mul_f16_sdwa v88, v88, v93 dst_sel:DWORD dst_unused:UNUSED_PAD src0_sel:DWORD src1_sel:WORD_1
	v_fma_f16 v88, v122, v93, v88
	s_waitcnt vmcnt(12)
	v_mul_f16_sdwa v27, v121, v94 dst_sel:DWORD dst_unused:UNUSED_PAD src0_sel:DWORD src1_sel:WORD_1
	v_fma_f16 v27, v89, v94, -v27
	s_waitcnt vmcnt(11) lgkmcnt(4)
	v_mul_f16_sdwa v93, v123, v96 dst_sel:DWORD dst_unused:UNUSED_PAD src0_sel:DWORD src1_sel:WORD_1
	v_fma_f16 v93, v86, v96, -v93
	v_mul_f16_sdwa v86, v86, v96 dst_sel:DWORD dst_unused:UNUSED_PAD src0_sel:DWORD src1_sel:WORD_1
	v_fma_f16 v86, v123, v96, v86
	v_mul_f16_sdwa v89, v89, v94 dst_sel:DWORD dst_unused:UNUSED_PAD src0_sel:DWORD src1_sel:WORD_1
	v_fma_f16 v89, v121, v94, v89
	s_waitcnt vmcnt(9) lgkmcnt(2)
	v_mul_f16_sdwa v96, v125, v9 dst_sel:DWORD dst_unused:UNUSED_PAD src0_sel:DWORD src1_sel:WORD_1
	v_fma_f16 v96, v82, v9, -v96
	v_mul_f16_sdwa v82, v82, v9 dst_sel:DWORD dst_unused:UNUSED_PAD src0_sel:DWORD src1_sel:WORD_1
	v_mul_f16_sdwa v94, v124, v97 dst_sel:DWORD dst_unused:UNUSED_PAD src0_sel:DWORD src1_sel:WORD_1
	v_fma_f16 v9, v125, v9, v82
	s_waitcnt vmcnt(8) lgkmcnt(1)
	v_mul_f16_sdwa v82, v126, v100 dst_sel:DWORD dst_unused:UNUSED_PAD src0_sel:DWORD src1_sel:WORD_1
	v_fma_f16 v94, v84, v97, -v94
	v_mul_f16_sdwa v84, v84, v97 dst_sel:DWORD dst_unused:UNUSED_PAD src0_sel:DWORD src1_sel:WORD_1
	v_fma_f16 v82, v80, v100, -v82
	v_mul_f16_sdwa v80, v80, v100 dst_sel:DWORD dst_unused:UNUSED_PAD src0_sel:DWORD src1_sel:WORD_1
	v_fma_f16 v84, v124, v97, v84
	v_fma_f16 v80, v126, v100, v80
	ds_read_u16 v97, v42 offset:5632
	ds_read_u16 v100, v42 offset:5888
	;; [unrolled: 1-line block ×8, first 2 shown]
	v_sub_f16_e32 v27, v74, v27
	v_fma_f16 v74, v74, 2.0, -v27
	s_waitcnt lgkmcnt(8)
	v_sub_f16_e32 v1, v127, v1
	s_waitcnt vmcnt(7) lgkmcnt(7)
	v_mul_f16_sdwa v129, v97, v106 dst_sel:DWORD dst_unused:UNUSED_PAD src0_sel:DWORD src1_sel:WORD_1
	v_fma_f16 v129, v87, v106, -v129
	v_mul_f16_sdwa v87, v87, v106 dst_sel:DWORD dst_unused:UNUSED_PAD src0_sel:DWORD src1_sel:WORD_1
	v_fma_f16 v87, v97, v106, v87
	s_waitcnt vmcnt(6) lgkmcnt(6)
	v_mul_f16_sdwa v97, v100, v107 dst_sel:DWORD dst_unused:UNUSED_PAD src0_sel:DWORD src1_sel:WORD_1
	v_fma_f16 v97, v85, v107, -v97
	v_mul_f16_sdwa v85, v85, v107 dst_sel:DWORD dst_unused:UNUSED_PAD src0_sel:DWORD src1_sel:WORD_1
	v_fma_f16 v85, v100, v107, v85
	;; [unrolled: 5-line block ×3, first 2 shown]
	s_waitcnt vmcnt(4) lgkmcnt(4)
	v_mul_f16_sdwa v106, v122, v112 dst_sel:DWORD dst_unused:UNUSED_PAD src0_sel:DWORD src1_sel:WORD_1
	s_waitcnt vmcnt(3) lgkmcnt(3)
	v_mul_f16_sdwa v107, v123, v114 dst_sel:DWORD dst_unused:UNUSED_PAD src0_sel:DWORD src1_sel:WORD_1
	v_fma_f16 v106, v81, v112, -v106
	v_mul_f16_sdwa v81, v81, v112 dst_sel:DWORD dst_unused:UNUSED_PAD src0_sel:DWORD src1_sel:WORD_1
	v_fma_f16 v107, v79, v114, -v107
	v_mul_f16_sdwa v79, v79, v114 dst_sel:DWORD dst_unused:UNUSED_PAD src0_sel:DWORD src1_sel:WORD_1
	v_fma_f16 v81, v122, v112, v81
	v_fma_f16 v79, v123, v114, v79
	s_waitcnt vmcnt(2) lgkmcnt(2)
	v_mul_f16_sdwa v108, v124, v116 dst_sel:DWORD dst_unused:UNUSED_PAD src0_sel:DWORD src1_sel:WORD_1
	v_fma_f16 v108, v78, v116, -v108
	v_mul_f16_sdwa v78, v78, v116 dst_sel:DWORD dst_unused:UNUSED_PAD src0_sel:DWORD src1_sel:WORD_1
	v_fma_f16 v78, v124, v116, v78
	s_waitcnt vmcnt(1) lgkmcnt(1)
	v_mul_f16_sdwa v112, v125, v118 dst_sel:DWORD dst_unused:UNUSED_PAD src0_sel:DWORD src1_sel:WORD_1
	v_sub_f16_e32 v116, v75, v128
	v_fma_f16 v112, v77, v118, -v112
	s_waitcnt vmcnt(0) lgkmcnt(0)
	v_mul_f16_sdwa v114, v126, v120 dst_sel:DWORD dst_unused:UNUSED_PAD src0_sel:DWORD src1_sel:WORD_1
	v_mul_f16_sdwa v77, v77, v118 dst_sel:DWORD dst_unused:UNUSED_PAD src0_sel:DWORD src1_sel:WORD_1
	v_fma_f16 v114, v76, v120, -v114
	v_mul_f16_sdwa v76, v76, v120 dst_sel:DWORD dst_unused:UNUSED_PAD src0_sel:DWORD src1_sel:WORD_1
	v_fma_f16 v75, v75, 2.0, -v116
	v_fma_f16 v77, v125, v118, v77
	v_fma_f16 v76, v126, v120, v76
	ds_read_u16 v118, v21
	ds_read_u16 v120, v18
	;; [unrolled: 1-line block ×14, first 2 shown]
	s_waitcnt lgkmcnt(0)
	s_barrier
	ds_write_b16 v42, v75
	ds_write_b16 v42, v116 offset:480
	v_mov_b32_e32 v75, 0x3c0
	v_cndmask_b32_e64 v75, 0, v75, s[0:1]
	v_add3_u32 v2, 0, v75, v2
	ds_write_b16 v2, v74
	ds_write_b16 v2, v27 offset:480
	v_sub_f16_e32 v74, v73, v90
	v_fma_f16 v73, v73, 2.0, -v74
	v_lshl_add_u32 v27, v0, 1, 0
	ds_write_b16 v27, v73 offset:992
	ds_write_b16 v27, v74 offset:1472
	v_mul_u32_u24_e32 v73, 0x3c0, v91
	v_lshlrev_b32_e32 v74, 1, v92
	v_add3_u32 v73, 0, v73, v74
	v_sub_f16_e32 v74, v72, v93
	v_fma_f16 v72, v72, 2.0, -v74
	ds_write_b16 v73, v72
	ds_write_b16 v73, v74 offset:480
	v_sub_f16_e32 v72, v71, v94
	v_fma_f16 v71, v71, 2.0, -v72
	v_lshl_add_u32 v74, v95, 1, 0
	ds_write_b16 v74, v71 offset:1920
	ds_write_b16 v74, v72 offset:2400
	v_lshlrev_b32_e32 v71, 1, v98
	v_add3_u32 v8, 0, v8, v71
	v_sub_f16_e32 v71, v68, v96
	v_fma_f16 v68, v68, 2.0, -v71
	ds_write_b16 v8, v68
	ds_write_b16 v8, v71 offset:480
	v_sub_f16_e32 v68, v70, v82
	v_fma_f16 v70, v70, 2.0, -v68
	v_lshl_add_u32 v71, v99, 1, 0
	ds_write_b16 v71, v70 offset:2880
	ds_write_b16 v71, v68 offset:3360
	v_mul_u32_u24_e32 v68, 0x3c0, v101
	v_lshlrev_b32_e32 v70, 1, v102
	v_add3_u32 v68, 0, v68, v70
	v_sub_f16_e32 v70, v69, v129
	v_fma_f16 v69, v69, 2.0, -v70
	ds_write_b16 v68, v69
	ds_write_b16 v68, v70 offset:480
	v_sub_f16_e32 v69, v67, v97
	v_fma_f16 v67, v67, 2.0, -v69
	v_lshl_add_u32 v70, v103, 1, 0
	ds_write_b16 v70, v67 offset:3840
	ds_write_b16 v70, v69 offset:4320
	v_mul_u32_u24_e32 v67, 0x3c0, v104
	;; [unrolled: 12-line block ×4, first 2 shown]
	v_lshlrev_b32_e32 v64, 1, v117
	v_add3_u32 v63, 0, v63, v64
	v_sub_f16_e32 v64, v61, v112
	v_fma_f16 v61, v61, 2.0, -v64
	ds_write_b16 v63, v61
	ds_write_b16 v63, v64 offset:480
	v_sub_f16_e32 v61, v62, v114
	v_fma_f16 v62, v62, 2.0, -v61
	v_lshl_add_u32 v64, v119, 1, 0
	ds_write_b16 v64, v62 offset:6720
	ds_write_b16 v64, v61 offset:7200
	v_fma_f16 v61, v127, 2.0, -v1
	s_waitcnt lgkmcnt(0)
	s_barrier
	ds_read_u16 v62, v43
	ds_read_u16 v72, v42
	ds_read_u16 v75, v42 offset:3840
	ds_read_u16 v82, v42 offset:4096
	;; [unrolled: 1-line block ×7, first 2 shown]
	ds_read_u16 v95, v47
	ds_read_u16 v96, v48
	ds_read_u16 v97, v49
	ds_read_u16 v98, v50
	ds_read_u16 v99, v45
	ds_read_u16 v100, v44
	ds_read_u16 v101, v46
	ds_read_u16 v102, v51
	ds_read_u16 v103, v52
	ds_read_u16 v104, v53
	ds_read_u16 v105, v18
	ds_read_u16 v106, v21
	ds_read_u16 v107, v54
	ds_read_u16 v108, v42 offset:5632
	ds_read_u16 v109, v42 offset:5888
	;; [unrolled: 1-line block ×8, first 2 shown]
	s_waitcnt lgkmcnt(0)
	s_barrier
	ds_write_b16 v42, v61
	ds_write_b16 v42, v1 offset:480
	v_sub_f16_e32 v1, v118, v89
	v_fma_f16 v61, v118, 2.0, -v1
	ds_write_b16 v2, v61
	ds_write_b16 v2, v1 offset:480
	v_sub_f16_e32 v1, v120, v88
	v_fma_f16 v2, v120, 2.0, -v1
	ds_write_b16 v27, v2 offset:992
	ds_write_b16 v27, v1 offset:1472
	v_sub_f16_e32 v1, v128, v86
	v_fma_f16 v2, v128, 2.0, -v1
	ds_write_b16 v73, v2
	ds_write_b16 v73, v1 offset:480
	v_sub_f16_e32 v1, v126, v84
	v_fma_f16 v2, v126, 2.0, -v1
	ds_write_b16 v74, v2 offset:1920
	;; [unrolled: 8-line block ×3, first 2 shown]
	ds_write_b16 v71, v1 offset:3360
	v_sub_f16_e32 v1, v123, v87
	v_fma_f16 v2, v123, 2.0, -v1
	v_sub_f16_e32 v8, v124, v85
	ds_write_b16 v68, v2
	ds_write_b16 v68, v1 offset:480
	v_fma_f16 v1, v124, 2.0, -v8
	ds_write_b16 v70, v8 offset:4320
	v_sub_f16_e32 v8, v125, v83
	v_fma_f16 v9, v125, 2.0, -v8
	ds_write_b16 v70, v1 offset:3840
	ds_write_b16 v67, v9
	ds_write_b16 v67, v8 offset:480
	v_sub_f16_e32 v8, v130, v81
	v_fma_f16 v9, v130, 2.0, -v8
	ds_write_b16 v69, v9 offset:4800
	ds_write_b16 v69, v8 offset:5280
	v_sub_f16_e32 v8, v131, v79
	v_fma_f16 v9, v131, 2.0, -v8
	ds_write_b16 v65, v9
	ds_write_b16 v65, v8 offset:480
	v_sub_f16_e32 v8, v132, v78
	v_fma_f16 v9, v132, 2.0, -v8
	ds_write_b16 v66, v9 offset:5760
	ds_write_b16 v66, v8 offset:6240
	v_sub_f16_e32 v8, v133, v77
	v_fma_f16 v9, v133, 2.0, -v8
	v_lshlrev_b64 v[1:2], 2, v[28:29]
	ds_write_b16 v63, v9
	ds_write_b16 v63, v8 offset:480
	v_sub_f16_e32 v8, v134, v76
	v_fma_f16 v9, v134, 2.0, -v8
	ds_write_b16 v64, v9 offset:6720
	ds_write_b16 v64, v8 offset:7200
	v_add_co_u32_e64 v8, s[0:1], s8, v1
	v_addc_co_u32_e64 v9, s[0:1], v59, v2, s[0:1]
	v_add_u32_e32 v0, 0xffffffa0, v0
	v_cmp_gt_u32_e64 s[0:1], s4, v37
	s_waitcnt lgkmcnt(0)
	s_barrier
	global_load_dword v29, v[10:11], off offset:1880
	global_load_dword v63, v[8:9], off offset:1880
	v_cndmask_b32_e64 v2, v0, v37, s[0:1]
	v_lshlrev_b64 v[0:1], 2, v[2:3]
	global_load_dword v61, v[6:7], off offset:1880
	v_add_co_u32_e64 v0, s[0:1], s8, v0
	v_addc_co_u32_e64 v1, s[0:1], v59, v1, s[0:1]
	global_load_dword v64, v[0:1], off offset:1880
	global_load_dword v65, v[10:11], off offset:2008
	;; [unrolled: 1-line block ×4, first 2 shown]
	v_mul_lo_u16_sdwa v0, v12, s4 dst_sel:DWORD dst_unused:UNUSED_PAD src0_sel:BYTE_3 src1_sel:DWORD
	v_sub_u16_e32 v0, v16, v0
	v_lshlrev_b32_e32 v1, 2, v0
	global_load_dword v1, v1, s[8:9] offset:1880
	v_lshlrev_b32_e32 v68, 2, v25
	global_load_dword v68, v68, s[8:9] offset:1880
	;; [unrolled: 2-line block ×3, first 2 shown]
	v_mul_lo_u16_sdwa v71, v13, s4 dst_sel:DWORD dst_unused:UNUSED_PAD src0_sel:BYTE_3 src1_sel:DWORD
	v_lshlrev_b32_e32 v70, 2, v57
	global_load_dword v70, v70, s[8:9] offset:1880
	v_sub_u16_e32 v71, v23, v71
	v_lshlrev_b32_e32 v73, 2, v71
	global_load_dword v73, v73, s[8:9] offset:1880
	v_lshlrev_b32_e32 v74, 2, v58
	global_load_dword v74, v74, s[8:9] offset:1880
	v_mul_lo_u16_sdwa v56, v56, s4 dst_sel:DWORD dst_unused:UNUSED_PAD src0_sel:BYTE_3 src1_sel:DWORD
	v_lshlrev_b32_e32 v76, 2, v60
	global_load_dword v76, v76, s[8:9] offset:1880
	v_sub_u16_e32 v56, v30, v56
	v_lshlrev_b32_e32 v77, 2, v56
	global_load_dword v77, v77, s[8:9] offset:1880
	ds_read_u16 v78, v42 offset:3840
	ds_read_u16 v79, v42 offset:4096
	;; [unrolled: 1-line block ×7, first 2 shown]
	ds_read_u16 v86, v42
	s_movk_i32 s0, 0x1df
	v_cmp_lt_u32_e64 s[0:1], s0, v37
	v_lshlrev_b32_e32 v2, 1, v2
	v_lshlrev_b32_e32 v0, 1, v0
	v_lshl_add_u32 v25, v25, 1, 0
	v_lshl_add_u32 v55, v55, 1, 0
	;; [unrolled: 1-line block ×6, first 2 shown]
	v_lshlrev_b64 v[33:34], 2, v[33:34]
	v_lshlrev_b64 v[31:32], 2, v[31:32]
	s_movk_i32 s4, 0x1000
	s_waitcnt vmcnt(14) lgkmcnt(7)
	v_mul_f16_sdwa v87, v78, v29 dst_sel:DWORD dst_unused:UNUSED_PAD src0_sel:DWORD src1_sel:WORD_1
	v_fma_f16 v87, v75, v29, -v87
	v_mul_f16_sdwa v75, v75, v29 dst_sel:DWORD dst_unused:UNUSED_PAD src0_sel:DWORD src1_sel:WORD_1
	v_fma_f16 v29, v78, v29, v75
	s_waitcnt vmcnt(12) lgkmcnt(6)
	v_mul_f16_sdwa v75, v79, v61 dst_sel:DWORD dst_unused:UNUSED_PAD src0_sel:DWORD src1_sel:WORD_1
	v_mul_f16_sdwa v78, v82, v61 dst_sel:DWORD dst_unused:UNUSED_PAD src0_sel:DWORD src1_sel:WORD_1
	v_fma_f16 v75, v82, v61, -v75
	v_fma_f16 v61, v79, v61, v78
	s_waitcnt lgkmcnt(5)
	v_mul_f16_sdwa v78, v80, v63 dst_sel:DWORD dst_unused:UNUSED_PAD src0_sel:DWORD src1_sel:WORD_1
	v_mul_f16_sdwa v79, v90, v63 dst_sel:DWORD dst_unused:UNUSED_PAD src0_sel:DWORD src1_sel:WORD_1
	v_fma_f16 v78, v90, v63, -v78
	v_fma_f16 v63, v80, v63, v79
	s_waitcnt vmcnt(11) lgkmcnt(4)
	v_mul_f16_sdwa v79, v81, v64 dst_sel:DWORD dst_unused:UNUSED_PAD src0_sel:DWORD src1_sel:WORD_1
	v_mul_f16_sdwa v80, v91, v64 dst_sel:DWORD dst_unused:UNUSED_PAD src0_sel:DWORD src1_sel:WORD_1
	v_fma_f16 v79, v91, v64, -v79
	v_fma_f16 v64, v81, v64, v80
	s_waitcnt vmcnt(10) lgkmcnt(3)
	;; [unrolled: 5-line block ×4, first 2 shown]
	v_mul_f16_sdwa v82, v85, v67 dst_sel:DWORD dst_unused:UNUSED_PAD src0_sel:DWORD src1_sel:WORD_1
	v_mul_f16_sdwa v83, v94, v67 dst_sel:DWORD dst_unused:UNUSED_PAD src0_sel:DWORD src1_sel:WORD_1
	v_fma_f16 v82, v94, v67, -v82
	v_fma_f16 v67, v85, v67, v83
	ds_read_u16 v83, v42 offset:5632
	ds_read_u16 v84, v42 offset:5888
	;; [unrolled: 1-line block ×8, first 2 shown]
	s_waitcnt vmcnt(7) lgkmcnt(7)
	v_mul_f16_sdwa v93, v83, v1 dst_sel:DWORD dst_unused:UNUSED_PAD src0_sel:DWORD src1_sel:WORD_1
	v_mul_f16_sdwa v94, v108, v1 dst_sel:DWORD dst_unused:UNUSED_PAD src0_sel:DWORD src1_sel:WORD_1
	v_fma_f16 v93, v108, v1, -v93
	v_fma_f16 v83, v83, v1, v94
	s_waitcnt vmcnt(6) lgkmcnt(6)
	v_mul_f16_sdwa v1, v84, v68 dst_sel:DWORD dst_unused:UNUSED_PAD src0_sel:DWORD src1_sel:WORD_1
	v_mul_f16_sdwa v94, v109, v68 dst_sel:DWORD dst_unused:UNUSED_PAD src0_sel:DWORD src1_sel:WORD_1
	v_fma_f16 v1, v109, v68, -v1
	v_fma_f16 v68, v84, v68, v94
	;; [unrolled: 5-line block ×6, first 2 shown]
	s_waitcnt vmcnt(1) lgkmcnt(1)
	v_mul_f16_sdwa v90, v91, v76 dst_sel:DWORD dst_unused:UNUSED_PAD src0_sel:DWORD src1_sel:WORD_1
	v_mul_f16_sdwa v94, v114, v76 dst_sel:DWORD dst_unused:UNUSED_PAD src0_sel:DWORD src1_sel:WORD_1
	v_sub_f16_e32 v87, v72, v87
	v_fma_f16 v90, v114, v76, -v90
	v_fma_f16 v76, v91, v76, v94
	s_waitcnt vmcnt(0) lgkmcnt(0)
	v_mul_f16_sdwa v91, v92, v77 dst_sel:DWORD dst_unused:UNUSED_PAD src0_sel:DWORD src1_sel:WORD_1
	v_mul_f16_sdwa v94, v115, v77 dst_sel:DWORD dst_unused:UNUSED_PAD src0_sel:DWORD src1_sel:WORD_1
	v_fma_f16 v72, v72, 2.0, -v87
	v_fma_f16 v91, v115, v77, -v91
	v_fma_f16 v77, v92, v77, v94
	ds_read_u16 v92, v21
	ds_read_u16 v94, v18
	;; [unrolled: 1-line block ×14, first 2 shown]
	s_waitcnt lgkmcnt(0)
	s_barrier
	ds_write_b16 v42, v72
	ds_write_b16 v42, v87 offset:960
	v_sub_f16_e32 v72, v106, v75
	v_fma_f16 v75, v106, 2.0, -v72
	ds_write_b16 v21, v75
	ds_write_b16 v21, v72 offset:960
	v_sub_f16_e32 v72, v105, v78
	v_fma_f16 v75, v105, 2.0, -v72
	ds_write_b16 v18, v75
	ds_write_b16 v18, v72 offset:960
	v_mov_b32_e32 v72, 0x780
	v_cndmask_b32_e64 v72, 0, v72, s[0:1]
	v_add3_u32 v2, 0, v72, v2
	v_sub_f16_e32 v72, v100, v79
	v_fma_f16 v75, v100, 2.0, -v72
	ds_write_b16 v2, v75
	ds_write_b16 v2, v72 offset:960
	v_sub_f16_e32 v72, v99, v80
	v_fma_f16 v75, v99, 2.0, -v72
	ds_write_b16 v27, v75 offset:1984
	ds_write_b16 v27, v72 offset:2944
	v_sub_f16_e32 v72, v62, v81
	v_fma_f16 v62, v62, 2.0, -v72
	s_movk_i32 s0, 0x780
	ds_write_b16 v27, v62 offset:2240
	ds_write_b16 v27, v72 offset:3200
	v_sub_f16_e32 v62, v95, v82
	v_mul_u32_u24_sdwa v12, v12, s0 dst_sel:DWORD dst_unused:UNUSED_PAD src0_sel:BYTE_3 src1_sel:DWORD
	v_fma_f16 v72, v95, 2.0, -v62
	v_add3_u32 v12, 0, v12, v0
	v_sub_f16_e32 v0, v96, v93
	ds_write_b16 v27, v72 offset:2496
	ds_write_b16 v27, v62 offset:3456
	v_fma_f16 v62, v96, 2.0, -v0
	ds_write_b16 v12, v62
	ds_write_b16 v12, v0 offset:960
	v_sub_f16_e32 v0, v97, v1
	v_fma_f16 v1, v97, 2.0, -v0
	ds_write_b16 v25, v1 offset:3840
	ds_write_b16 v25, v0 offset:4800
	v_sub_f16_e32 v0, v98, v84
	v_fma_f16 v1, v98, 2.0, -v0
	ds_write_b16 v55, v1 offset:3840
	ds_write_b16 v55, v0 offset:4800
	v_sub_f16_e32 v0, v101, v85
	v_fma_f16 v1, v101, 2.0, -v0
	ds_write_b16 v57, v1 offset:3840
	ds_write_b16 v57, v0 offset:4800
	v_mul_u32_u24_sdwa v0, v13, s0 dst_sel:DWORD dst_unused:UNUSED_PAD src0_sel:BYTE_3 src1_sel:DWORD
	v_lshlrev_b32_e32 v1, 1, v71
	v_add3_u32 v13, 0, v0, v1
	v_sub_f16_e32 v0, v102, v88
	v_fma_f16 v1, v102, 2.0, -v0
	ds_write_b16 v13, v1
	ds_write_b16 v13, v0 offset:960
	v_sub_f16_e32 v0, v103, v89
	v_fma_f16 v1, v103, 2.0, -v0
	ds_write_b16 v58, v1 offset:5760
	ds_write_b16 v58, v0 offset:6720
	v_sub_f16_e32 v0, v104, v90
	v_fma_f16 v1, v104, 2.0, -v0
	ds_write_b16 v60, v1 offset:5760
	;; [unrolled: 4-line block ×3, first 2 shown]
	ds_write_b16 v56, v0 offset:6720
	v_sub_f16_e32 v0, v86, v29
	v_fma_f16 v1, v86, 2.0, -v0
	s_waitcnt lgkmcnt(0)
	s_barrier
	ds_read_u16 v29, v43
	ds_read_u16 v62, v42
	ds_read_u16 v71, v42 offset:3840
	ds_read_u16 v72, v42 offset:4096
	;; [unrolled: 1-line block ×7, first 2 shown]
	ds_read_u16 v82, v47
	ds_read_u16 v84, v48
	ds_read_u16 v85, v49
	ds_read_u16 v86, v50
	ds_read_u16 v87, v45
	ds_read_u16 v88, v44
	ds_read_u16 v89, v46
	ds_read_u16 v90, v51
	ds_read_u16 v91, v52
	ds_read_u16 v93, v53
	ds_read_u16 v95, v18
	ds_read_u16 v96, v21
	ds_read_u16 v97, v54
	ds_read_u16 v98, v42 offset:5632
	ds_read_u16 v99, v42 offset:5888
	;; [unrolled: 1-line block ×8, first 2 shown]
	s_waitcnt lgkmcnt(0)
	s_barrier
	ds_write_b16 v42, v1
	ds_write_b16 v42, v0 offset:960
	v_sub_f16_e32 v0, v92, v61
	v_fma_f16 v1, v92, 2.0, -v0
	ds_write_b16 v21, v1
	ds_write_b16 v21, v0 offset:960
	v_sub_f16_e32 v0, v94, v63
	v_fma_f16 v1, v94, 2.0, -v0
	;; [unrolled: 4-line block ×3, first 2 shown]
	ds_write_b16 v2, v1
	ds_write_b16 v2, v0 offset:960
	v_sub_f16_e32 v2, v113, v65
	v_lshlrev_b64 v[0:1], 2, v[37:38]
	v_fma_f16 v37, v113, 2.0, -v2
	ds_write_b16 v27, v37 offset:1984
	ds_write_b16 v27, v2 offset:2944
	v_sub_f16_e32 v2, v108, v66
	v_fma_f16 v37, v108, 2.0, -v2
	ds_write_b16 v27, v37 offset:2240
	ds_write_b16 v27, v2 offset:3200
	v_sub_f16_e32 v2, v109, v67
	;; [unrolled: 4-line block ×3, first 2 shown]
	v_fma_f16 v37, v110, 2.0, -v2
	ds_write_b16 v12, v37
	ds_write_b16 v12, v2 offset:960
	v_sub_f16_e32 v2, v111, v68
	v_fma_f16 v12, v111, 2.0, -v2
	ds_write_b16 v25, v12 offset:3840
	ds_write_b16 v25, v2 offset:4800
	v_sub_f16_e32 v2, v112, v69
	v_fma_f16 v12, v112, 2.0, -v2
	ds_write_b16 v55, v12 offset:3840
	;; [unrolled: 4-line block ×3, first 2 shown]
	ds_write_b16 v57, v2 offset:4800
	v_sub_f16_e32 v2, v116, v73
	v_fma_f16 v12, v116, 2.0, -v2
	ds_write_b16 v13, v12
	ds_write_b16 v13, v2 offset:960
	v_sub_f16_e32 v2, v117, v74
	v_fma_f16 v12, v117, 2.0, -v2
	ds_write_b16 v58, v12 offset:5760
	ds_write_b16 v58, v2 offset:6720
	v_sub_f16_e32 v2, v118, v76
	v_fma_f16 v12, v118, 2.0, -v2
	ds_write_b16 v60, v12 offset:5760
	ds_write_b16 v60, v2 offset:6720
	v_sub_f16_e32 v2, v119, v77
	v_fma_f16 v12, v119, 2.0, -v2
	ds_write_b16 v56, v12 offset:5760
	ds_write_b16 v56, v2 offset:6720
	v_add_co_u32_e64 v0, s[0:1], s8, v0
	v_lshlrev_b64 v[12:13], 2, v[35:36]
	v_addc_co_u32_e64 v1, s[0:1], v59, v1, s[0:1]
	v_add_co_u32_e64 v12, s[0:1], s8, v12
	v_addc_co_u32_e64 v13, s[0:1], v59, v13, s[0:1]
	v_add_co_u32_e64 v33, s[0:1], s8, v33
	v_addc_co_u32_e64 v34, s[0:1], v59, v34, s[0:1]
	s_waitcnt lgkmcnt(0)
	s_barrier
	global_load_dword v25, v[10:11], off offset:3800
	global_load_dword v38, v[8:9], off offset:3800
	v_add_co_u32_e64 v35, s[0:1], s8, v31
	v_addc_co_u32_e64 v36, s[0:1], v59, v32, s[0:1]
	global_load_dword v37, v[6:7], off offset:3800
	s_movk_i32 s0, 0x3c0
	v_add_u32_e32 v2, 0xfffffc40, v16
	v_cmp_gt_u32_e64 s[0:1], s0, v16
	v_cndmask_b32_e64 v2, v2, v16, s[0:1]
	global_load_dword v55, v[0:1], off offset:3800
	global_load_dword v56, v[12:13], off offset:3800
	v_lshlrev_b64 v[31:32], 2, v[2:3]
	global_load_dword v57, v[33:34], off offset:3800
	global_load_dword v58, v[35:36], off offset:3800
	v_add_co_u32_e64 v31, s[0:1], s8, v31
	v_addc_co_u32_e64 v32, s[0:1], v59, v32, s[0:1]
	global_load_dword v59, v[31:32], off offset:3800
	global_load_dword v60, v[10:11], off offset:4056
	v_add_co_u32_e64 v10, s[0:1], s4, v10
	v_addc_co_u32_e64 v11, s[0:1], 0, v11, s[0:1]
	global_load_dword v31, v[10:11], off offset:472
	global_load_dword v32, v[10:11], off offset:984
	;; [unrolled: 1-line block ×6, first 2 shown]
	ds_read_u16 v66, v42 offset:3840
	ds_read_u16 v67, v42 offset:4096
	;; [unrolled: 1-line block ×7, first 2 shown]
	ds_read_u16 v76, v42
	s_movk_i32 s0, 0x3bf
	v_cmp_lt_u32_e64 s[0:1], s0, v16
	v_lshlrev_b32_e32 v2, 1, v2
	s_waitcnt vmcnt(14) lgkmcnt(7)
	v_mul_f16_sdwa v77, v66, v25 dst_sel:DWORD dst_unused:UNUSED_PAD src0_sel:DWORD src1_sel:WORD_1
	v_fma_f16 v77, v71, v25, -v77
	v_mul_f16_sdwa v71, v71, v25 dst_sel:DWORD dst_unused:UNUSED_PAD src0_sel:DWORD src1_sel:WORD_1
	v_fma_f16 v25, v66, v25, v71
	s_waitcnt lgkmcnt(0)
	v_sub_f16_e32 v25, v76, v25
	s_waitcnt vmcnt(12)
	v_mul_f16_sdwa v66, v67, v37 dst_sel:DWORD dst_unused:UNUSED_PAD src0_sel:DWORD src1_sel:WORD_1
	v_mul_f16_sdwa v71, v72, v37 dst_sel:DWORD dst_unused:UNUSED_PAD src0_sel:DWORD src1_sel:WORD_1
	v_fma_f16 v66, v72, v37, -v66
	v_fma_f16 v83, v67, v37, v71
	v_mul_f16_sdwa v37, v68, v38 dst_sel:DWORD dst_unused:UNUSED_PAD src0_sel:DWORD src1_sel:WORD_1
	v_mul_f16_sdwa v67, v75, v38 dst_sel:DWORD dst_unused:UNUSED_PAD src0_sel:DWORD src1_sel:WORD_1
	v_fma_f16 v37, v75, v38, -v37
	v_fma_f16 v92, v68, v38, v67
	s_waitcnt vmcnt(11)
	v_mul_f16_sdwa v38, v69, v55 dst_sel:DWORD dst_unused:UNUSED_PAD src0_sel:DWORD src1_sel:WORD_1
	v_mul_f16_sdwa v67, v78, v55 dst_sel:DWORD dst_unused:UNUSED_PAD src0_sel:DWORD src1_sel:WORD_1
	v_fma_f16 v38, v78, v55, -v38
	v_fma_f16 v94, v69, v55, v67
	s_waitcnt vmcnt(10)
	;; [unrolled: 5-line block ×4, first 2 shown]
	v_mul_f16_sdwa v57, v74, v58 dst_sel:DWORD dst_unused:UNUSED_PAD src0_sel:DWORD src1_sel:WORD_1
	v_mul_f16_sdwa v67, v81, v58 dst_sel:DWORD dst_unused:UNUSED_PAD src0_sel:DWORD src1_sel:WORD_1
	v_fma_f16 v57, v81, v58, -v57
	v_fma_f16 v81, v74, v58, v67
	ds_read_u16 v58, v42 offset:5632
	ds_read_u16 v67, v42 offset:5888
	;; [unrolled: 1-line block ×8, first 2 shown]
	s_waitcnt vmcnt(7) lgkmcnt(7)
	v_mul_f16_sdwa v74, v58, v59 dst_sel:DWORD dst_unused:UNUSED_PAD src0_sel:DWORD src1_sel:WORD_1
	v_mul_f16_sdwa v75, v98, v59 dst_sel:DWORD dst_unused:UNUSED_PAD src0_sel:DWORD src1_sel:WORD_1
	v_fma_f16 v74, v98, v59, -v74
	v_fma_f16 v98, v58, v59, v75
	s_waitcnt vmcnt(6) lgkmcnt(6)
	v_mul_f16_sdwa v58, v67, v60 dst_sel:DWORD dst_unused:UNUSED_PAD src0_sel:DWORD src1_sel:WORD_1
	v_mul_f16_sdwa v59, v99, v60 dst_sel:DWORD dst_unused:UNUSED_PAD src0_sel:DWORD src1_sel:WORD_1
	v_fma_f16 v58, v99, v60, -v58
	v_fma_f16 v99, v67, v60, v59
	;; [unrolled: 5-line block ×8, first 2 shown]
	v_sub_f16_e32 v65, v62, v77
	v_fma_f16 v62, v62, 2.0, -v65
	ds_read_u16 v105, v21
	ds_read_u16 v107, v18
	;; [unrolled: 1-line block ×14, first 2 shown]
	s_waitcnt lgkmcnt(0)
	s_barrier
	ds_write_b16 v42, v62
	ds_write_b16 v42, v65 offset:1920
	v_sub_f16_e32 v62, v96, v66
	v_fma_f16 v65, v96, 2.0, -v62
	v_sub_f16_e32 v37, v95, v37
	ds_write_b16 v21, v65
	ds_write_b16 v21, v62 offset:1920
	v_fma_f16 v62, v95, 2.0, -v37
	ds_write_b16 v18, v62
	ds_write_b16 v18, v37 offset:1920
	v_sub_f16_e32 v37, v88, v38
	v_fma_f16 v38, v88, 2.0, -v37
	ds_write_b16 v44, v38
	ds_write_b16 v44, v37 offset:1920
	v_sub_f16_e32 v37, v87, v55
	;; [unrolled: 4-line block ×4, first 2 shown]
	v_fma_f16 v37, v82, 2.0, -v29
	ds_write_b16 v47, v37
	ds_write_b16 v47, v29 offset:1920
	v_mov_b32_e32 v29, 0xf00
	v_cndmask_b32_e64 v29, 0, v29, s[0:1]
	v_add3_u32 v82, 0, v29, v2
	v_sub_f16_e32 v2, v84, v74
	v_fma_f16 v29, v84, 2.0, -v2
	ds_write_b16 v82, v29
	ds_write_b16 v82, v2 offset:1920
	v_sub_f16_e32 v2, v85, v58
	v_fma_f16 v29, v85, 2.0, -v2
	ds_write_b16 v27, v29 offset:3968
	ds_write_b16 v27, v2 offset:5888
	v_sub_f16_e32 v2, v86, v59
	v_fma_f16 v29, v86, 2.0, -v2
	ds_write_b16 v27, v29 offset:4224
	;; [unrolled: 4-line block ×7, first 2 shown]
	ds_write_b16 v27, v2 offset:7424
	v_fma_f16 v84, v76, 2.0, -v25
	s_waitcnt lgkmcnt(0)
	s_barrier
	ds_read_u16 v59, v43
	ds_read_u16 v29, v42
	ds_read_u16 v2, v42 offset:3840
	ds_read_u16 v32, v42 offset:4096
	;; [unrolled: 1-line block ×7, first 2 shown]
	ds_read_u16 v63, v47
	ds_read_u16 v64, v48
	;; [unrolled: 1-line block ×13, first 2 shown]
	ds_read_u16 v66, v42 offset:5632
	ds_read_u16 v68, v42 offset:5888
	;; [unrolled: 1-line block ×8, first 2 shown]
	s_waitcnt lgkmcnt(0)
	s_barrier
	ds_write_b16 v42, v84
	ds_write_b16 v42, v25 offset:1920
	v_sub_f16_e32 v25, v105, v83
	v_fma_f16 v83, v105, 2.0, -v25
	ds_write_b16 v21, v83
	ds_write_b16 v21, v25 offset:1920
	v_sub_f16_e32 v21, v107, v92
	v_fma_f16 v25, v107, 2.0, -v21
	;; [unrolled: 4-line block ×8, first 2 shown]
	ds_write_b16 v27, v21 offset:3968
	ds_write_b16 v27, v18 offset:5888
	v_sub_f16_e32 v18, v112, v31
	v_fma_f16 v21, v112, 2.0, -v18
	ds_write_b16 v27, v21 offset:4224
	ds_write_b16 v27, v18 offset:6144
	v_sub_f16_e32 v18, v115, v100
	v_fma_f16 v21, v115, 2.0, -v18
	;; [unrolled: 4-line block ×6, first 2 shown]
	ds_write_b16 v27, v21 offset:5504
	ds_write_b16 v27, v18 offset:7424
	s_waitcnt lgkmcnt(0)
	s_barrier
	s_and_saveexec_b64 s[0:1], vcc
	s_cbranch_execz .LBB0_15
; %bb.14:
	v_mov_b32_e32 v31, v3
	v_lshlrev_b64 v[30:31], 2, v[30:31]
	v_mov_b32_e32 v27, s9
	v_add_co_u32_e32 v18, vcc, s8, v30
	v_addc_co_u32_e32 v21, vcc, v27, v31, vcc
	v_mov_b32_e32 v25, v3
	v_add_co_u32_e32 v30, vcc, 0x1000, v18
	v_lshlrev_b64 v[24:25], 2, v[24:25]
	v_addc_co_u32_e32 v31, vcc, 0, v21, vcc
	v_add_co_u32_e32 v18, vcc, s8, v24
	v_addc_co_u32_e32 v21, vcc, v27, v25, vcc
	v_add_co_u32_e32 v24, vcc, s4, v18
	global_load_dword v30, v[30:31], off offset:3544
	v_addc_co_u32_e32 v25, vcc, 0, v21, vcc
	global_load_dword v25, v[24:25], off offset:3544
	v_mov_b32_e32 v21, v3
	v_lshlrev_b64 v[20:21], 2, v[20:21]
	v_mul_i32_i24_e32 v28, 0xffffffee, v28
	v_add_co_u32_e32 v18, vcc, s8, v20
	v_addc_co_u32_e32 v21, vcc, v27, v21, vcc
	v_add_co_u32_e32 v20, vcc, s4, v18
	v_addc_co_u32_e32 v21, vcc, 0, v21, vcc
	global_load_dword v31, v[20:21], off offset:3544
	v_mov_b32_e32 v24, v3
	v_lshlrev_b64 v[20:21], 2, v[23:24]
	v_mov_b32_e32 v23, v3
	v_add_co_u32_e32 v18, vcc, s8, v20
	v_addc_co_u32_e32 v21, vcc, v27, v21, vcc
	v_add_co_u32_e32 v20, vcc, s4, v18
	v_addc_co_u32_e32 v21, vcc, 0, v21, vcc
	global_load_dword v24, v[20:21], off offset:3544
	v_mov_b32_e32 v20, v3
	v_lshlrev_b64 v[19:20], 2, v[19:20]
	v_mov_b32_e32 v18, v3
	v_lshlrev_b64 v[17:18], 2, v[17:18]
	v_add_co_u32_e32 v19, vcc, s8, v19
	v_addc_co_u32_e32 v20, vcc, v27, v20, vcc
	v_lshlrev_b64 v[21:22], 2, v[22:23]
	v_add_co_u32_e32 v23, vcc, s8, v17
	v_addc_co_u32_e32 v82, vcc, v27, v18, vcc
	v_add_co_u32_e32 v17, vcc, s4, v19
	v_addc_co_u32_e32 v18, vcc, 0, v20, vcc
	ds_read_u16 v80, v42 offset:7424
	ds_read_u16 v81, v42 offset:7168
	global_load_dword v83, v[17:18], off offset:3544
	v_add_co_u32_e32 v19, vcc, s8, v21
	v_addc_co_u32_e32 v20, vcc, v27, v22, vcc
	v_add_co_u32_e32 v17, vcc, s4, v23
	v_addc_co_u32_e32 v18, vcc, 0, v82, vcc
	;; [unrolled: 2-line block ×3, first 2 shown]
	global_load_dword v21, v[17:18], off offset:3544
	global_load_dword v22, v[19:20], off offset:3544
	;; [unrolled: 1-line block ×3, first 2 shown]
	ds_read_u16 v18, v54
	v_add_u32_e32 v28, v41, v28
	v_mul_i32_i24_e32 v26, 0xffffffee, v26
	v_add_u32_e32 v26, v40, v26
	s_waitcnt vmcnt(7)
	v_lshrrev_b32_e32 v10, 16, v30
	s_waitcnt lgkmcnt(2)
	v_mul_f16_e32 v11, v30, v80
	v_mul_f16_e32 v17, v10, v80
	v_fma_f16 v17, v79, v30, -v17
	v_fma_f16 v10, v79, v10, v11
	ds_read_u16 v11, v53
	v_sub_f16_e32 v19, v78, v17
	s_waitcnt lgkmcnt(1)
	v_sub_f16_e32 v30, v18, v10
	s_waitcnt vmcnt(6)
	v_lshrrev_b32_e32 v10, 16, v25
	ds_read_u16 v17, v42 offset:6912
	v_mul_f16_e32 v53, v10, v81
	v_fma_f16 v53, v77, v25, -v53
	v_mul_f16_e32 v25, v25, v81
	v_fma_f16 v10, v77, v10, v25
	ds_read_u16 v25, v52
	v_sub_f16_e32 v53, v76, v53
	s_waitcnt lgkmcnt(2)
	v_sub_f16_e32 v52, v11, v10
	s_waitcnt vmcnt(5)
	v_lshrrev_b32_e32 v10, 16, v31
	v_fma_f16 v54, v76, 2.0, -v53
	v_fma_f16 v76, v11, 2.0, -v52
	ds_read_u16 v77, v42 offset:6656
	s_waitcnt lgkmcnt(2)
	v_mul_f16_e32 v11, v10, v17
	v_fma_f16 v11, v75, v31, -v11
	v_fma_f16 v20, v78, 2.0, -v19
	v_sub_f16_e32 v78, v74, v11
	v_mul_f16_e32 v11, v31, v17
	v_fma_f16 v10, v75, v10, v11
	v_mov_b32_e32 v17, v3
	ds_read_u16 v31, v51
	s_waitcnt lgkmcnt(2)
	v_sub_f16_e32 v51, v25, v10
	v_lshlrev_b64 v[10:11], 2, v[16:17]
	s_waitcnt vmcnt(4)
	v_lshrrev_b32_e32 v17, 16, v24
	v_add_co_u32_e32 v3, vcc, s8, v10
	v_addc_co_u32_e32 v11, vcc, v27, v11, vcc
	v_add_co_u32_e32 v10, vcc, s4, v3
	v_addc_co_u32_e32 v11, vcc, 0, v11, vcc
	global_load_dword v3, v[10:11], off offset:3544
	v_fma_f16 v16, v25, 2.0, -v51
	ds_read_u16 v25, v42 offset:6400
	s_waitcnt lgkmcnt(2)
	v_mul_f16_e32 v10, v17, v77
	v_fma_f16 v27, v73, v24, -v10
	v_add_co_u32_e32 v10, vcc, s4, v35
	v_addc_co_u32_e32 v11, vcc, 0, v36, vcc
	global_load_dword v35, v[10:11], off offset:3544
	v_mul_f16_e32 v10, v24, v77
	v_fma_f16 v10, v73, v17, v10
	s_waitcnt lgkmcnt(1)
	v_sub_f16_e32 v17, v31, v10
	v_add_co_u32_e32 v10, vcc, s4, v33
	v_addc_co_u32_e32 v11, vcc, 0, v34, vcc
	ds_read_u16 v34, v42 offset:6144
	global_load_dword v24, v[10:11], off offset:3544
	s_waitcnt vmcnt(6)
	v_lshrrev_b32_e32 v33, 16, v83
	v_sub_f16_e32 v27, v72, v27
	s_waitcnt lgkmcnt(1)
	v_mul_f16_e32 v10, v33, v25
	v_fma_f16 v36, v72, 2.0, -v27
	v_fma_f16 v72, v71, v83, -v10
	v_add_co_u32_e32 v10, vcc, s4, v12
	v_addc_co_u32_e32 v11, vcc, 0, v13, vcc
	global_load_dword v10, v[10:11], off offset:3544
	v_add_co_u32_e32 v0, vcc, s4, v0
	v_mul_f16_e32 v25, v83, v25
	v_addc_co_u32_e32 v1, vcc, 0, v1, vcc
	v_fma_f16 v25, v71, v33, v25
	global_load_dword v33, v[0:1], off offset:3544
	v_add_co_u32_e32 v0, vcc, s4, v8
	v_addc_co_u32_e32 v1, vcc, 0, v9, vcc
	global_load_dword v8, v[0:1], off offset:3544
	v_add_co_u32_e32 v0, vcc, s4, v6
	v_addc_co_u32_e32 v1, vcc, 0, v7, vcc
	ds_read_u16 v13, v46
	ds_read_u16 v9, v50
	;; [unrolled: 1-line block ×8, first 2 shown]
	global_load_dword v0, v[0:1], off offset:3544
	v_sub_f16_e32 v11, v70, v72
	s_waitcnt vmcnt(9)
	v_lshrrev_b32_e32 v49, 16, v21
	v_fma_f16 v12, v70, 2.0, -v11
	ds_read_u16 v50, v42 offset:5888
	s_waitcnt lgkmcnt(9)
	v_mul_f16_e32 v70, v49, v34
	v_fma_f16 v1, v69, v21, -v70
	v_sub_f16_e32 v6, v67, v1
	v_mul_f16_e32 v1, v21, v34
	ds_read_u16 v34, v42 offset:5632
	v_fma_f16 v1, v69, v49, v1
	s_waitcnt lgkmcnt(8)
	v_sub_f16_e32 v21, v9, v1
	s_waitcnt vmcnt(8)
	v_lshrrev_b32_e32 v1, 16, v22
	s_waitcnt lgkmcnt(1)
	v_mul_f16_e32 v49, v1, v50
	v_fma_f16 v49, v68, v22, -v49
	v_mul_f16_e32 v22, v22, v50
	v_fma_f16 v1, v68, v1, v22
	v_sub_f16_e32 v22, v46, v1
	v_fma_f16 v7, v67, 2.0, -v6
	ds_read_u16 v28, v28
	v_add_co_u32_e32 v14, vcc, s2, v14
	v_sub_f16_e32 v49, v65, v49
	v_fma_f16 v65, v65, 2.0, -v49
	v_fma_f16 v46, v46, 2.0, -v22
	v_fma_f16 v9, v9, 2.0, -v21
	v_sub_f16_e32 v25, v13, v25
	v_fma_f16 v13, v13, 2.0, -v25
	v_fma_f16 v31, v31, 2.0, -v17
	;; [unrolled: 1-line block ×4, first 2 shown]
	s_waitcnt vmcnt(6)
	v_lshrrev_b32_e32 v1, 16, v3
	s_waitcnt lgkmcnt(1)
	v_mul_f16_e32 v50, v1, v34
	v_fma_f16 v50, v66, v3, -v50
	v_mul_f16_e32 v3, v3, v34
	v_fma_f16 v1, v66, v1, v3
	ds_read_u16 v3, v42 offset:5376
	ds_read_u16 v66, v42 offset:5120
	v_sub_f16_e32 v34, v48, v1
	v_sub_f16_e32 v50, v64, v50
	s_waitcnt vmcnt(5)
	v_lshrrev_b32_e32 v1, 16, v35
	s_waitcnt lgkmcnt(1)
	v_mul_f16_e32 v67, v1, v3
	v_mul_f16_e32 v3, v35, v3
	v_fma_f16 v1, v62, v1, v3
	ds_read_u16 v3, v42 offset:4864
	v_fma_f16 v67, v62, v35, -v67
	v_sub_f16_e32 v35, v47, v1
	v_sub_f16_e32 v67, v63, v67
	v_fma_f16 v63, v63, 2.0, -v67
	s_waitcnt vmcnt(4)
	v_lshrrev_b32_e32 v1, 16, v24
	s_waitcnt lgkmcnt(1)
	v_mul_f16_e32 v62, v1, v66
	v_fma_f16 v62, v60, v24, -v62
	v_mul_f16_e32 v24, v24, v66
	v_fma_f16 v1, v60, v1, v24
	ds_read_u16 v60, v42 offset:4608
	v_sub_f16_e32 v24, v43, v1
	v_sub_f16_e32 v62, v59, v62
	v_fma_f16 v59, v59, 2.0, -v62
	v_fma_f16 v43, v43, 2.0, -v24
	s_waitcnt vmcnt(3)
	v_lshrrev_b32_e32 v1, 16, v10
	s_waitcnt lgkmcnt(1)
	v_mul_f16_e32 v66, v1, v3
	v_mul_f16_e32 v3, v10, v3
	v_fma_f16 v1, v56, v1, v3
	ds_read_u16 v3, v42 offset:4352
	v_fma_f16 v66, v56, v10, -v66
	v_sub_f16_e32 v10, v45, v1
	s_waitcnt vmcnt(2)
	v_lshrrev_b32_e32 v1, 16, v33
	s_waitcnt lgkmcnt(1)
	v_mul_f16_e32 v56, v1, v60
	v_fma_f16 v56, v55, v33, -v56
	v_mul_f16_e32 v33, v33, v60
	v_fma_f16 v1, v55, v1, v33
	ds_read_u16 v55, v42 offset:4096
	v_sub_f16_e32 v33, v44, v1
	s_waitcnt vmcnt(1)
	v_lshrrev_b32_e32 v1, 16, v8
	s_waitcnt lgkmcnt(1)
	v_mul_f16_e32 v60, v1, v3
	v_mul_f16_e32 v3, v8, v3
	v_fma_f16 v1, v37, v1, v3
	ds_read_u16 v3, v42 offset:3840
	v_fma_f16 v60, v37, v8, -v60
	ds_read_u16 v26, v26
	v_sub_f16_e32 v8, v28, v1
	s_waitcnt vmcnt(0)
	v_lshrrev_b32_e32 v1, 16, v0
	s_waitcnt lgkmcnt(2)
	v_mul_f16_e32 v37, v1, v55
	v_fma_f16 v37, v32, v0, -v37
	v_mul_f16_e32 v0, v0, v55
	v_fma_f16 v0, v32, v1, v0
	ds_read_u16 v1, v42
	s_waitcnt lgkmcnt(1)
	v_sub_f16_e32 v32, v26, v0
	v_lshrrev_b32_e32 v0, 16, v23
	v_mul_f16_e32 v40, v0, v3
	v_mul_f16_e32 v3, v23, v3
	v_fma_f16 v0, v2, v0, v3
	v_fma_f16 v40, v2, v23, -v40
	s_waitcnt lgkmcnt(0)
	v_sub_f16_e32 v2, v1, v0
	v_mov_b32_e32 v0, s3
	v_addc_co_u32_e32 v15, vcc, v0, v15, vcc
	v_sub_f16_e32 v40, v29, v40
	v_add_co_u32_e32 v0, vcc, v14, v4
	v_fma_f16 v29, v29, 2.0, -v40
	v_fma_f16 v3, v1, 2.0, -v2
	v_addc_co_u32_e32 v1, vcc, v15, v5, vcc
	v_sub_f16_e32 v37, v38, v37
	v_pack_b32_f16 v3, v29, v3
	v_pack_b32_f16 v4, v40, v2
	v_add_co_u32_e32 v2, vcc, s4, v0
	v_fma_f16 v38, v38, 2.0, -v37
	v_fma_f16 v26, v26, 2.0, -v32
	global_store_dword v[0:1], v3, off
	v_addc_co_u32_e32 v3, vcc, 0, v1, vcc
	global_store_dword v[2:3], v4, off offset:3584
	v_pack_b32_f16 v2, v38, v26
	global_store_dword v[0:1], v2, off offset:512
	v_or_b32_e32 v2, 0x2000, v39
	v_sub_f16_e32 v41, v57, v60
	v_add_co_u32_e32 v2, vcc, v14, v2
	v_fma_f16 v57, v57, 2.0, -v41
	v_fma_f16 v28, v28, 2.0, -v8
	v_addc_co_u32_e32 v3, vcc, 0, v15, vcc
	v_pack_b32_f16 v4, v37, v32
	global_store_dword v[2:3], v4, off
	v_pack_b32_f16 v2, v57, v28
	global_store_dword v[0:1], v2, off offset:1024
	v_or_b32_e32 v2, 0x2200, v39
	v_sub_f16_e32 v56, v58, v56
	v_add_co_u32_e32 v2, vcc, v14, v2
	v_fma_f16 v58, v58, 2.0, -v56
	v_fma_f16 v44, v44, 2.0, -v33
	v_addc_co_u32_e32 v3, vcc, 0, v15, vcc
	v_pack_b32_f16 v4, v41, v8
	global_store_dword v[2:3], v4, off
	;; [unrolled: 10-line block ×3, first 2 shown]
	v_pack_b32_f16 v2, v61, v45
	global_store_dword v[0:1], v2, off offset:2048
	v_or_b32_e32 v2, 0x2600, v39
	v_add_co_u32_e32 v2, vcc, v14, v2
	v_addc_co_u32_e32 v3, vcc, 0, v15, vcc
	v_pack_b32_f16 v4, v66, v10
	global_store_dword v[2:3], v4, off
	v_pack_b32_f16 v2, v59, v43
	global_store_dword v[0:1], v2, off offset:2560
	v_or_b32_e32 v2, 0x2800, v39
	v_add_co_u32_e32 v2, vcc, v14, v2
	v_fma_f16 v47, v47, 2.0, -v35
	v_addc_co_u32_e32 v3, vcc, 0, v15, vcc
	v_pack_b32_f16 v4, v62, v24
	global_store_dword v[2:3], v4, off
	v_pack_b32_f16 v2, v63, v47
	global_store_dword v[0:1], v2, off offset:3072
	v_or_b32_e32 v0, 0x2a00, v39
	v_add_co_u32_e32 v0, vcc, v14, v0
	v_addc_co_u32_e32 v1, vcc, 0, v15, vcc
	v_pack_b32_f16 v2, v67, v35
	global_store_dword v[0:1], v2, off
	v_or_b32_e32 v0, 0xe00, v39
	v_fma_f16 v64, v64, 2.0, -v50
	v_fma_f16 v48, v48, 2.0, -v34
	v_add_co_u32_e32 v0, vcc, v14, v0
	v_addc_co_u32_e32 v1, vcc, 0, v15, vcc
	v_pack_b32_f16 v2, v64, v48
	global_store_dword v[0:1], v2, off
	v_add_co_u32_e32 v0, vcc, s4, v0
	v_pack_b32_f16 v2, v50, v34
	v_addc_co_u32_e32 v1, vcc, 0, v1, vcc
	global_store_dword v[0:1], v2, off offset:3584
	v_or_b32_e32 v0, 0x1000, v39
	v_add_co_u32_e32 v0, vcc, v14, v0
	v_addc_co_u32_e32 v1, vcc, 0, v15, vcc
	v_pack_b32_f16 v2, v65, v46
	global_store_dword v[0:1], v2, off
	v_or_b32_e32 v0, 0x2e00, v39
	v_add_co_u32_e32 v0, vcc, v14, v0
	v_addc_co_u32_e32 v1, vcc, 0, v15, vcc
	v_pack_b32_f16 v2, v49, v22
	global_store_dword v[0:1], v2, off
	;; [unrolled: 5-line block ×14, first 2 shown]
.LBB0_15:
	s_endpgm
	.section	.rodata,"a",@progbits
	.p2align	6, 0x0
	.amdhsa_kernel fft_rtc_fwd_len3840_factors_10_6_2_2_2_2_2_2_wgs_128_tpt_128_halfLds_half_ip_CI_unitstride_sbrr_dirReg
		.amdhsa_group_segment_fixed_size 0
		.amdhsa_private_segment_fixed_size 0
		.amdhsa_kernarg_size 88
		.amdhsa_user_sgpr_count 6
		.amdhsa_user_sgpr_private_segment_buffer 1
		.amdhsa_user_sgpr_dispatch_ptr 0
		.amdhsa_user_sgpr_queue_ptr 0
		.amdhsa_user_sgpr_kernarg_segment_ptr 1
		.amdhsa_user_sgpr_dispatch_id 0
		.amdhsa_user_sgpr_flat_scratch_init 0
		.amdhsa_user_sgpr_private_segment_size 0
		.amdhsa_uses_dynamic_stack 0
		.amdhsa_system_sgpr_private_segment_wavefront_offset 0
		.amdhsa_system_sgpr_workgroup_id_x 1
		.amdhsa_system_sgpr_workgroup_id_y 0
		.amdhsa_system_sgpr_workgroup_id_z 0
		.amdhsa_system_sgpr_workgroup_info 0
		.amdhsa_system_vgpr_workitem_id 0
		.amdhsa_next_free_vgpr 149
		.amdhsa_next_free_sgpr 22
		.amdhsa_reserve_vcc 1
		.amdhsa_reserve_flat_scratch 0
		.amdhsa_float_round_mode_32 0
		.amdhsa_float_round_mode_16_64 0
		.amdhsa_float_denorm_mode_32 3
		.amdhsa_float_denorm_mode_16_64 3
		.amdhsa_dx10_clamp 1
		.amdhsa_ieee_mode 1
		.amdhsa_fp16_overflow 0
		.amdhsa_exception_fp_ieee_invalid_op 0
		.amdhsa_exception_fp_denorm_src 0
		.amdhsa_exception_fp_ieee_div_zero 0
		.amdhsa_exception_fp_ieee_overflow 0
		.amdhsa_exception_fp_ieee_underflow 0
		.amdhsa_exception_fp_ieee_inexact 0
		.amdhsa_exception_int_div_zero 0
	.end_amdhsa_kernel
	.text
.Lfunc_end0:
	.size	fft_rtc_fwd_len3840_factors_10_6_2_2_2_2_2_2_wgs_128_tpt_128_halfLds_half_ip_CI_unitstride_sbrr_dirReg, .Lfunc_end0-fft_rtc_fwd_len3840_factors_10_6_2_2_2_2_2_2_wgs_128_tpt_128_halfLds_half_ip_CI_unitstride_sbrr_dirReg
                                        ; -- End function
	.section	.AMDGPU.csdata,"",@progbits
; Kernel info:
; codeLenInByte = 24372
; NumSgprs: 26
; NumVgprs: 149
; ScratchSize: 0
; MemoryBound: 0
; FloatMode: 240
; IeeeMode: 1
; LDSByteSize: 0 bytes/workgroup (compile time only)
; SGPRBlocks: 3
; VGPRBlocks: 37
; NumSGPRsForWavesPerEU: 26
; NumVGPRsForWavesPerEU: 149
; Occupancy: 1
; WaveLimiterHint : 1
; COMPUTE_PGM_RSRC2:SCRATCH_EN: 0
; COMPUTE_PGM_RSRC2:USER_SGPR: 6
; COMPUTE_PGM_RSRC2:TRAP_HANDLER: 0
; COMPUTE_PGM_RSRC2:TGID_X_EN: 1
; COMPUTE_PGM_RSRC2:TGID_Y_EN: 0
; COMPUTE_PGM_RSRC2:TGID_Z_EN: 0
; COMPUTE_PGM_RSRC2:TIDIG_COMP_CNT: 0
	.type	__hip_cuid_1fbed3795165fd1f,@object ; @__hip_cuid_1fbed3795165fd1f
	.section	.bss,"aw",@nobits
	.globl	__hip_cuid_1fbed3795165fd1f
__hip_cuid_1fbed3795165fd1f:
	.byte	0                               ; 0x0
	.size	__hip_cuid_1fbed3795165fd1f, 1

	.ident	"AMD clang version 19.0.0git (https://github.com/RadeonOpenCompute/llvm-project roc-6.4.0 25133 c7fe45cf4b819c5991fe208aaa96edf142730f1d)"
	.section	".note.GNU-stack","",@progbits
	.addrsig
	.addrsig_sym __hip_cuid_1fbed3795165fd1f
	.amdgpu_metadata
---
amdhsa.kernels:
  - .args:
      - .actual_access:  read_only
        .address_space:  global
        .offset:         0
        .size:           8
        .value_kind:     global_buffer
      - .offset:         8
        .size:           8
        .value_kind:     by_value
      - .actual_access:  read_only
        .address_space:  global
        .offset:         16
        .size:           8
        .value_kind:     global_buffer
      - .actual_access:  read_only
        .address_space:  global
        .offset:         24
        .size:           8
        .value_kind:     global_buffer
      - .offset:         32
        .size:           8
        .value_kind:     by_value
      - .actual_access:  read_only
        .address_space:  global
        .offset:         40
        .size:           8
        .value_kind:     global_buffer
      - .actual_access:  read_only
        .address_space:  global
        .offset:         48
        .size:           8
        .value_kind:     global_buffer
      - .offset:         56
        .size:           4
        .value_kind:     by_value
      - .actual_access:  read_only
        .address_space:  global
        .offset:         64
        .size:           8
        .value_kind:     global_buffer
      - .actual_access:  read_only
        .address_space:  global
        .offset:         72
        .size:           8
        .value_kind:     global_buffer
      - .address_space:  global
        .offset:         80
        .size:           8
        .value_kind:     global_buffer
    .group_segment_fixed_size: 0
    .kernarg_segment_align: 8
    .kernarg_segment_size: 88
    .language:       OpenCL C
    .language_version:
      - 2
      - 0
    .max_flat_workgroup_size: 128
    .name:           fft_rtc_fwd_len3840_factors_10_6_2_2_2_2_2_2_wgs_128_tpt_128_halfLds_half_ip_CI_unitstride_sbrr_dirReg
    .private_segment_fixed_size: 0
    .sgpr_count:     26
    .sgpr_spill_count: 0
    .symbol:         fft_rtc_fwd_len3840_factors_10_6_2_2_2_2_2_2_wgs_128_tpt_128_halfLds_half_ip_CI_unitstride_sbrr_dirReg.kd
    .uniform_work_group_size: 1
    .uses_dynamic_stack: false
    .vgpr_count:     149
    .vgpr_spill_count: 0
    .wavefront_size: 64
amdhsa.target:   amdgcn-amd-amdhsa--gfx906
amdhsa.version:
  - 1
  - 2
...

	.end_amdgpu_metadata
